;; amdgpu-corpus repo=ROCm/rocFFT kind=compiled arch=gfx1201 opt=O3
	.text
	.amdgcn_target "amdgcn-amd-amdhsa--gfx1201"
	.amdhsa_code_object_version 6
	.protected	fft_rtc_fwd_len1020_factors_2_17_2_3_5_wgs_204_tpt_68_halfLds_dp_ip_CI_unitstride_sbrr_R2C_dirReg ; -- Begin function fft_rtc_fwd_len1020_factors_2_17_2_3_5_wgs_204_tpt_68_halfLds_dp_ip_CI_unitstride_sbrr_R2C_dirReg
	.globl	fft_rtc_fwd_len1020_factors_2_17_2_3_5_wgs_204_tpt_68_halfLds_dp_ip_CI_unitstride_sbrr_R2C_dirReg
	.p2align	8
	.type	fft_rtc_fwd_len1020_factors_2_17_2_3_5_wgs_204_tpt_68_halfLds_dp_ip_CI_unitstride_sbrr_R2C_dirReg,@function
fft_rtc_fwd_len1020_factors_2_17_2_3_5_wgs_204_tpt_68_halfLds_dp_ip_CI_unitstride_sbrr_R2C_dirReg: ; @fft_rtc_fwd_len1020_factors_2_17_2_3_5_wgs_204_tpt_68_halfLds_dp_ip_CI_unitstride_sbrr_R2C_dirReg
; %bb.0:
	s_load_b128 s[4:7], s[0:1], 0x0
	v_mul_u32_u24_e32 v1, 0x3c4, v0
	s_clause 0x1
	s_load_b64 s[8:9], s[0:1], 0x50
	s_load_b64 s[10:11], s[0:1], 0x18
	v_mov_b32_e32 v5, 0
	v_lshrrev_b32_e32 v1, 16, v1
	s_delay_alu instid0(VALU_DEP_1) | instskip(SKIP_3) | instid1(VALU_DEP_1)
	v_mad_co_u64_u32 v[1:2], null, ttmp9, 3, v[1:2]
	v_mov_b32_e32 v3, 0
	v_mov_b32_e32 v4, 0
	;; [unrolled: 1-line block ×4, first 2 shown]
	s_wait_kmcnt 0x0
	v_cmp_lt_u64_e64 s2, s[6:7], 2
	v_mov_b32_e32 v9, v1
	s_delay_alu instid0(VALU_DEP_2)
	s_and_b32 vcc_lo, exec_lo, s2
	s_cbranch_vccnz .LBB0_8
; %bb.1:
	s_load_b64 s[2:3], s[0:1], 0x10
	v_dual_mov_b32 v3, 0 :: v_dual_mov_b32 v8, v2
	v_dual_mov_b32 v4, 0 :: v_dual_mov_b32 v7, v1
	s_add_nc_u64 s[12:13], s[10:11], 8
	s_mov_b64 s[14:15], 1
	s_wait_kmcnt 0x0
	s_add_nc_u64 s[16:17], s[2:3], 8
	s_mov_b32 s3, 0
.LBB0_2:                                ; =>This Inner Loop Header: Depth=1
	s_load_b64 s[18:19], s[16:17], 0x0
                                        ; implicit-def: $vgpr9_vgpr10
	s_mov_b32 s2, exec_lo
	s_wait_kmcnt 0x0
	v_or_b32_e32 v6, s19, v8
	s_delay_alu instid0(VALU_DEP_1)
	v_cmpx_ne_u64_e32 0, v[5:6]
	s_wait_alu 0xfffe
	s_xor_b32 s20, exec_lo, s2
	s_cbranch_execz .LBB0_4
; %bb.3:                                ;   in Loop: Header=BB0_2 Depth=1
	s_cvt_f32_u32 s2, s18
	s_cvt_f32_u32 s21, s19
	s_sub_nc_u64 s[24:25], 0, s[18:19]
	s_wait_alu 0xfffe
	s_delay_alu instid0(SALU_CYCLE_1) | instskip(SKIP_1) | instid1(SALU_CYCLE_2)
	s_fmamk_f32 s2, s21, 0x4f800000, s2
	s_wait_alu 0xfffe
	v_s_rcp_f32 s2, s2
	s_delay_alu instid0(TRANS32_DEP_1) | instskip(SKIP_1) | instid1(SALU_CYCLE_2)
	s_mul_f32 s2, s2, 0x5f7ffffc
	s_wait_alu 0xfffe
	s_mul_f32 s21, s2, 0x2f800000
	s_wait_alu 0xfffe
	s_delay_alu instid0(SALU_CYCLE_2) | instskip(SKIP_1) | instid1(SALU_CYCLE_2)
	s_trunc_f32 s21, s21
	s_wait_alu 0xfffe
	s_fmamk_f32 s2, s21, 0xcf800000, s2
	s_cvt_u32_f32 s23, s21
	s_wait_alu 0xfffe
	s_delay_alu instid0(SALU_CYCLE_1) | instskip(SKIP_1) | instid1(SALU_CYCLE_2)
	s_cvt_u32_f32 s22, s2
	s_wait_alu 0xfffe
	s_mul_u64 s[26:27], s[24:25], s[22:23]
	s_wait_alu 0xfffe
	s_mul_hi_u32 s29, s22, s27
	s_mul_i32 s28, s22, s27
	s_mul_hi_u32 s2, s22, s26
	s_mul_i32 s30, s23, s26
	s_wait_alu 0xfffe
	s_add_nc_u64 s[28:29], s[2:3], s[28:29]
	s_mul_hi_u32 s21, s23, s26
	s_mul_hi_u32 s31, s23, s27
	s_add_co_u32 s2, s28, s30
	s_wait_alu 0xfffe
	s_add_co_ci_u32 s2, s29, s21
	s_mul_i32 s26, s23, s27
	s_add_co_ci_u32 s27, s31, 0
	s_wait_alu 0xfffe
	s_add_nc_u64 s[26:27], s[2:3], s[26:27]
	s_wait_alu 0xfffe
	v_add_co_u32 v2, s2, s22, s26
	s_delay_alu instid0(VALU_DEP_1) | instskip(SKIP_1) | instid1(VALU_DEP_1)
	s_cmp_lg_u32 s2, 0
	s_add_co_ci_u32 s23, s23, s27
	v_readfirstlane_b32 s22, v2
	s_wait_alu 0xfffe
	s_delay_alu instid0(VALU_DEP_1)
	s_mul_u64 s[24:25], s[24:25], s[22:23]
	s_wait_alu 0xfffe
	s_mul_hi_u32 s27, s22, s25
	s_mul_i32 s26, s22, s25
	s_mul_hi_u32 s2, s22, s24
	s_mul_i32 s28, s23, s24
	s_wait_alu 0xfffe
	s_add_nc_u64 s[26:27], s[2:3], s[26:27]
	s_mul_hi_u32 s21, s23, s24
	s_mul_hi_u32 s22, s23, s25
	s_wait_alu 0xfffe
	s_add_co_u32 s2, s26, s28
	s_add_co_ci_u32 s2, s27, s21
	s_mul_i32 s24, s23, s25
	s_add_co_ci_u32 s25, s22, 0
	s_wait_alu 0xfffe
	s_add_nc_u64 s[24:25], s[2:3], s[24:25]
	s_wait_alu 0xfffe
	v_add_co_u32 v2, s2, v2, s24
	s_delay_alu instid0(VALU_DEP_1) | instskip(SKIP_1) | instid1(VALU_DEP_1)
	s_cmp_lg_u32 s2, 0
	s_add_co_ci_u32 s2, s23, s25
	v_mul_hi_u32 v6, v7, v2
	s_wait_alu 0xfffe
	v_mad_co_u64_u32 v[9:10], null, v7, s2, 0
	v_mad_co_u64_u32 v[11:12], null, v8, v2, 0
	;; [unrolled: 1-line block ×3, first 2 shown]
	s_delay_alu instid0(VALU_DEP_3) | instskip(SKIP_1) | instid1(VALU_DEP_4)
	v_add_co_u32 v2, vcc_lo, v6, v9
	s_wait_alu 0xfffd
	v_add_co_ci_u32_e32 v6, vcc_lo, 0, v10, vcc_lo
	s_delay_alu instid0(VALU_DEP_2) | instskip(SKIP_1) | instid1(VALU_DEP_2)
	v_add_co_u32 v2, vcc_lo, v2, v11
	s_wait_alu 0xfffd
	v_add_co_ci_u32_e32 v2, vcc_lo, v6, v12, vcc_lo
	s_wait_alu 0xfffd
	v_add_co_ci_u32_e32 v6, vcc_lo, 0, v14, vcc_lo
	s_delay_alu instid0(VALU_DEP_2) | instskip(SKIP_1) | instid1(VALU_DEP_2)
	v_add_co_u32 v2, vcc_lo, v2, v13
	s_wait_alu 0xfffd
	v_add_co_ci_u32_e32 v6, vcc_lo, 0, v6, vcc_lo
	s_delay_alu instid0(VALU_DEP_2) | instskip(SKIP_1) | instid1(VALU_DEP_3)
	v_mul_lo_u32 v11, s19, v2
	v_mad_co_u64_u32 v[9:10], null, s18, v2, 0
	v_mul_lo_u32 v12, s18, v6
	s_delay_alu instid0(VALU_DEP_2) | instskip(NEXT) | instid1(VALU_DEP_2)
	v_sub_co_u32 v9, vcc_lo, v7, v9
	v_add3_u32 v10, v10, v12, v11
	s_delay_alu instid0(VALU_DEP_1) | instskip(SKIP_1) | instid1(VALU_DEP_1)
	v_sub_nc_u32_e32 v11, v8, v10
	s_wait_alu 0xfffd
	v_subrev_co_ci_u32_e64 v11, s2, s19, v11, vcc_lo
	v_add_co_u32 v12, s2, v2, 2
	s_wait_alu 0xf1ff
	v_add_co_ci_u32_e64 v13, s2, 0, v6, s2
	v_sub_co_u32 v14, s2, v9, s18
	v_sub_co_ci_u32_e32 v10, vcc_lo, v8, v10, vcc_lo
	s_wait_alu 0xf1ff
	v_subrev_co_ci_u32_e64 v11, s2, 0, v11, s2
	s_delay_alu instid0(VALU_DEP_3) | instskip(NEXT) | instid1(VALU_DEP_3)
	v_cmp_le_u32_e32 vcc_lo, s18, v14
	v_cmp_eq_u32_e64 s2, s19, v10
	s_wait_alu 0xfffd
	v_cndmask_b32_e64 v14, 0, -1, vcc_lo
	v_cmp_le_u32_e32 vcc_lo, s19, v11
	s_wait_alu 0xfffd
	v_cndmask_b32_e64 v15, 0, -1, vcc_lo
	v_cmp_le_u32_e32 vcc_lo, s18, v9
	;; [unrolled: 3-line block ×3, first 2 shown]
	s_wait_alu 0xfffd
	v_cndmask_b32_e64 v16, 0, -1, vcc_lo
	v_cmp_eq_u32_e32 vcc_lo, s19, v11
	s_wait_alu 0xf1ff
	s_delay_alu instid0(VALU_DEP_2)
	v_cndmask_b32_e64 v9, v16, v9, s2
	s_wait_alu 0xfffd
	v_cndmask_b32_e32 v11, v15, v14, vcc_lo
	v_add_co_u32 v14, vcc_lo, v2, 1
	s_wait_alu 0xfffd
	v_add_co_ci_u32_e32 v15, vcc_lo, 0, v6, vcc_lo
	s_delay_alu instid0(VALU_DEP_3) | instskip(SKIP_1) | instid1(VALU_DEP_2)
	v_cmp_ne_u32_e32 vcc_lo, 0, v11
	s_wait_alu 0xfffd
	v_dual_cndmask_b32 v10, v15, v13 :: v_dual_cndmask_b32 v11, v14, v12
	v_cmp_ne_u32_e32 vcc_lo, 0, v9
	s_wait_alu 0xfffd
	s_delay_alu instid0(VALU_DEP_2) | instskip(NEXT) | instid1(VALU_DEP_3)
	v_cndmask_b32_e32 v10, v6, v10, vcc_lo
	v_cndmask_b32_e32 v9, v2, v11, vcc_lo
.LBB0_4:                                ;   in Loop: Header=BB0_2 Depth=1
	s_wait_alu 0xfffe
	s_and_not1_saveexec_b32 s2, s20
	s_cbranch_execz .LBB0_6
; %bb.5:                                ;   in Loop: Header=BB0_2 Depth=1
	v_cvt_f32_u32_e32 v2, s18
	s_sub_co_i32 s20, 0, s18
	s_delay_alu instid0(VALU_DEP_1) | instskip(NEXT) | instid1(TRANS32_DEP_1)
	v_rcp_iflag_f32_e32 v2, v2
	v_mul_f32_e32 v2, 0x4f7ffffe, v2
	s_delay_alu instid0(VALU_DEP_1) | instskip(SKIP_1) | instid1(VALU_DEP_1)
	v_cvt_u32_f32_e32 v2, v2
	s_wait_alu 0xfffe
	v_mul_lo_u32 v6, s20, v2
	s_delay_alu instid0(VALU_DEP_1) | instskip(NEXT) | instid1(VALU_DEP_1)
	v_mul_hi_u32 v6, v2, v6
	v_add_nc_u32_e32 v2, v2, v6
	s_delay_alu instid0(VALU_DEP_1) | instskip(NEXT) | instid1(VALU_DEP_1)
	v_mul_hi_u32 v2, v7, v2
	v_mul_lo_u32 v6, v2, s18
	v_add_nc_u32_e32 v9, 1, v2
	s_delay_alu instid0(VALU_DEP_2) | instskip(NEXT) | instid1(VALU_DEP_1)
	v_sub_nc_u32_e32 v6, v7, v6
	v_subrev_nc_u32_e32 v10, s18, v6
	v_cmp_le_u32_e32 vcc_lo, s18, v6
	s_wait_alu 0xfffd
	s_delay_alu instid0(VALU_DEP_2) | instskip(SKIP_2) | instid1(VALU_DEP_3)
	v_cndmask_b32_e32 v6, v6, v10, vcc_lo
	v_mov_b32_e32 v10, v5
	v_cndmask_b32_e32 v2, v2, v9, vcc_lo
	v_cmp_le_u32_e32 vcc_lo, s18, v6
	s_delay_alu instid0(VALU_DEP_2) | instskip(SKIP_1) | instid1(VALU_DEP_1)
	v_add_nc_u32_e32 v9, 1, v2
	s_wait_alu 0xfffd
	v_cndmask_b32_e32 v9, v2, v9, vcc_lo
.LBB0_6:                                ;   in Loop: Header=BB0_2 Depth=1
	s_wait_alu 0xfffe
	s_or_b32 exec_lo, exec_lo, s2
	s_load_b64 s[20:21], s[12:13], 0x0
	v_mul_lo_u32 v2, v10, s18
	v_mul_lo_u32 v6, v9, s19
	v_mad_co_u64_u32 v[11:12], null, v9, s18, 0
	s_add_nc_u64 s[14:15], s[14:15], 1
	s_add_nc_u64 s[12:13], s[12:13], 8
	s_wait_alu 0xfffe
	v_cmp_ge_u64_e64 s2, s[14:15], s[6:7]
	s_add_nc_u64 s[16:17], s[16:17], 8
	s_delay_alu instid0(VALU_DEP_2) | instskip(NEXT) | instid1(VALU_DEP_3)
	v_add3_u32 v2, v12, v6, v2
	v_sub_co_u32 v6, vcc_lo, v7, v11
	s_wait_alu 0xfffd
	s_delay_alu instid0(VALU_DEP_2) | instskip(SKIP_3) | instid1(VALU_DEP_2)
	v_sub_co_ci_u32_e32 v2, vcc_lo, v8, v2, vcc_lo
	s_and_b32 vcc_lo, exec_lo, s2
	s_wait_kmcnt 0x0
	v_mul_lo_u32 v7, s21, v6
	v_mul_lo_u32 v2, s20, v2
	v_mad_co_u64_u32 v[3:4], null, s20, v6, v[3:4]
	s_delay_alu instid0(VALU_DEP_1)
	v_add3_u32 v4, v7, v4, v2
	s_wait_alu 0xfffe
	s_cbranch_vccnz .LBB0_8
; %bb.7:                                ;   in Loop: Header=BB0_2 Depth=1
	v_dual_mov_b32 v7, v9 :: v_dual_mov_b32 v8, v10
	s_branch .LBB0_2
.LBB0_8:
	s_lshl_b64 s[2:3], s[6:7], 3
	v_mul_hi_u32 v2, 0xaaaaaaab, v1
	s_wait_alu 0xfffe
	s_add_nc_u64 s[2:3], s[10:11], s[2:3]
	v_mul_hi_u32 v5, 0x3c3c3c4, v0
	s_load_b64 s[2:3], s[2:3], 0x0
	s_load_b64 s[0:1], s[0:1], 0x20
	s_delay_alu instid0(VALU_DEP_2) | instskip(NEXT) | instid1(VALU_DEP_2)
	v_lshrrev_b32_e32 v2, 1, v2
	v_mul_u32_u24_e32 v5, 0x44, v5
	s_delay_alu instid0(VALU_DEP_2) | instskip(NEXT) | instid1(VALU_DEP_2)
	v_lshl_add_u32 v2, v2, 1, v2
	v_sub_nc_u32_e32 v68, v0, v5
	s_delay_alu instid0(VALU_DEP_2) | instskip(NEXT) | instid1(VALU_DEP_2)
	v_sub_nc_u32_e32 v2, v1, v2
	v_add_nc_u32_e32 v73, 0x44, v68
	v_add_nc_u32_e32 v83, 0x88, v68
	;; [unrolled: 1-line block ×3, first 2 shown]
	s_wait_kmcnt 0x0
	v_mul_lo_u32 v5, s2, v10
	v_mul_lo_u32 v6, s3, v9
	v_mad_co_u64_u32 v[0:1], null, s2, v9, v[3:4]
	v_cmp_gt_u64_e32 vcc_lo, s[0:1], v[9:10]
	v_cmp_le_u64_e64 s0, s[0:1], v[9:10]
	v_add_nc_u32_e32 v79, 0x110, v68
	v_add_nc_u32_e32 v77, 0x154, v68
	;; [unrolled: 1-line block ×4, first 2 shown]
	v_add3_u32 v1, v6, v1, v5
	s_and_saveexec_b32 s1, s0
	s_wait_alu 0xfffe
	s_xor_b32 s0, exec_lo, s1
; %bb.9:
	v_add_nc_u32_e32 v73, 0x44, v68
	v_add_nc_u32_e32 v83, 0x88, v68
	;; [unrolled: 1-line block ×7, first 2 shown]
; %bb.10:
	s_wait_alu 0xfffe
	s_or_saveexec_b32 s1, s0
	v_mul_u32_u24_e32 v2, 0x3fd, v2
	v_lshlrev_b64_e32 v[168:169], 4, v[0:1]
	v_lshlrev_b32_e32 v74, 4, v68
	s_delay_alu instid0(VALU_DEP_3)
	v_lshlrev_b32_e32 v76, 4, v2
	s_wait_alu 0xfffe
	s_xor_b32 exec_lo, exec_lo, s1
	s_cbranch_execz .LBB0_12
; %bb.11:
	v_mov_b32_e32 v69, 0
	v_add_co_u32 v2, s0, s8, v168
	s_wait_alu 0xf1ff
	v_add_co_ci_u32_e64 v3, s0, s9, v169, s0
	s_delay_alu instid0(VALU_DEP_3) | instskip(SKIP_1) | instid1(VALU_DEP_2)
	v_lshlrev_b64_e32 v[0:1], 4, v[68:69]
	v_add3_u32 v60, 0, v76, v74
	v_add_co_u32 v56, s0, v2, v0
	s_wait_alu 0xf1ff
	s_delay_alu instid0(VALU_DEP_3)
	v_add_co_ci_u32_e64 v57, s0, v3, v1, s0
	s_clause 0xe
	global_load_b128 v[0:3], v[56:57], off
	global_load_b128 v[4:7], v[56:57], off offset:1088
	global_load_b128 v[8:11], v[56:57], off offset:2176
	global_load_b128 v[12:15], v[56:57], off offset:3264
	global_load_b128 v[16:19], v[56:57], off offset:4352
	global_load_b128 v[20:23], v[56:57], off offset:5440
	global_load_b128 v[24:27], v[56:57], off offset:6528
	global_load_b128 v[28:31], v[56:57], off offset:7616
	global_load_b128 v[32:35], v[56:57], off offset:8704
	global_load_b128 v[36:39], v[56:57], off offset:9792
	global_load_b128 v[40:43], v[56:57], off offset:10880
	global_load_b128 v[44:47], v[56:57], off offset:11968
	global_load_b128 v[48:51], v[56:57], off offset:13056
	global_load_b128 v[52:55], v[56:57], off offset:14144
	global_load_b128 v[56:59], v[56:57], off offset:15232
	s_wait_loadcnt 0xe
	ds_store_b128 v60, v[0:3]
	s_wait_loadcnt 0xd
	ds_store_b128 v60, v[4:7] offset:1088
	s_wait_loadcnt 0xc
	ds_store_b128 v60, v[8:11] offset:2176
	;; [unrolled: 2-line block ×14, first 2 shown]
.LBB0_12:
	s_or_b32 exec_lo, exec_lo, s1
	v_add_nc_u32_e32 v170, 0, v76
	v_add3_u32 v69, 0, v74, v76
	global_wb scope:SCOPE_SE
	s_wait_dscnt 0x0
	s_barrier_signal -1
	s_barrier_wait -1
	v_add_nc_u32_e32 v72, v170, v74
	global_inv scope:SCOPE_SE
	v_cmp_gt_u32_e64 s0, 34, v68
	v_lshl_add_u32 v78, v79, 5, v170
	v_lshl_add_u32 v80, v77, 5, v170
	ds_load_b128 v[8:11], v72
	ds_load_b128 v[0:3], v69 offset:8160
	ds_load_b128 v[4:7], v69 offset:9248
	;; [unrolled: 1-line block ×15, first 2 shown]
	v_lshl_add_u32 v82, v70, 5, v170
	global_wb scope:SCOPE_SE
	s_wait_dscnt 0x0
	s_barrier_signal -1
	s_barrier_wait -1
	global_inv scope:SCOPE_SE
	v_add_f64_e64 v[48:49], v[8:9], -v[0:1]
	v_add_f64_e64 v[50:51], v[10:11], -v[2:3]
	v_add_f64_e64 v[44:45], v[16:17], -v[4:5]
	v_add_f64_e64 v[46:47], v[18:19], -v[6:7]
	v_add_f64_e64 v[12:13], v[20:21], -v[12:13]
	v_add_f64_e64 v[14:15], v[22:23], -v[14:15]
	v_add_f64_e64 v[0:1], v[24:25], -v[28:29]
	v_add_f64_e64 v[2:3], v[26:27], -v[30:31]
	v_add_f64_e64 v[4:5], v[36:37], -v[32:33]
	v_add_f64_e64 v[6:7], v[38:39], -v[34:35]
	v_add_f64_e64 v[28:29], v[56:57], -v[40:41]
	v_add_f64_e64 v[30:31], v[58:59], -v[42:43]
	v_add_f64_e64 v[40:41], v[64:65], -v[52:53]
	v_add_f64_e64 v[42:43], v[66:67], -v[54:55]
	v_add_f64_e64 v[60:61], v[84:85], -v[60:61]
	v_add_f64_e64 v[62:63], v[86:87], -v[62:63]
	v_fma_f64 v[8:9], v[8:9], 2.0, -v[48:49]
	v_fma_f64 v[10:11], v[10:11], 2.0, -v[50:51]
	v_fma_f64 v[52:53], v[16:17], 2.0, -v[44:45]
	v_fma_f64 v[54:55], v[18:19], 2.0, -v[46:47]
	v_fma_f64 v[32:33], v[20:21], 2.0, -v[12:13]
	v_fma_f64 v[34:35], v[22:23], 2.0, -v[14:15]
	v_fma_f64 v[20:21], v[24:25], 2.0, -v[0:1]
	v_fma_f64 v[22:23], v[26:27], 2.0, -v[2:3]
	v_fma_f64 v[16:17], v[36:37], 2.0, -v[4:5]
	v_fma_f64 v[18:19], v[38:39], 2.0, -v[6:7]
	v_fma_f64 v[24:25], v[56:57], 2.0, -v[28:29]
	v_fma_f64 v[26:27], v[58:59], 2.0, -v[30:31]
	v_fma_f64 v[36:37], v[64:65], 2.0, -v[40:41]
	v_fma_f64 v[38:39], v[66:67], 2.0, -v[42:43]
	v_fma_f64 v[56:57], v[84:85], 2.0, -v[60:61]
	v_fma_f64 v[58:59], v[86:87], 2.0, -v[62:63]
	v_lshl_add_u32 v64, v68, 5, v170
	v_lshl_add_u32 v65, v73, 5, v170
	;; [unrolled: 1-line block ×4, first 2 shown]
	ds_store_b128 v64, v[8:11]
	ds_store_b128 v64, v[48:51] offset:16
	ds_store_b128 v65, v[52:55]
	ds_store_b128 v65, v[44:47] offset:16
	ds_store_b128 v66, v[32:35]
	ds_store_b128 v66, v[12:15] offset:16
	ds_store_b128 v67, v[20:23]
	ds_store_b128 v67, v[0:3] offset:16
	ds_store_b128 v78, v[16:19]
	ds_store_b128 v78, v[4:7] offset:16
	ds_store_b128 v80, v[24:27]
	ds_store_b128 v80, v[28:31] offset:16
	ds_store_b128 v82, v[36:39]
	ds_store_b128 v82, v[40:43] offset:16
	s_and_saveexec_b32 s1, s0
	s_cbranch_execz .LBB0_14
; %bb.13:
	v_lshlrev_b32_e32 v64, 5, v75
	s_delay_alu instid0(VALU_DEP_1)
	v_add3_u32 v64, 0, v64, v76
	ds_store_b128 v64, v[56:59]
	ds_store_b128 v64, v[60:63] offset:16
.LBB0_14:
	s_wait_alu 0xfffe
	s_or_b32 exec_lo, exec_lo, s1
	v_cmp_gt_u32_e64 s1, 60, v68
	global_wb scope:SCOPE_SE
	s_wait_dscnt 0x0
	s_barrier_signal -1
	s_barrier_wait -1
	global_inv scope:SCOPE_SE
                                        ; implicit-def: $vgpr66_vgpr67
	s_and_saveexec_b32 s2, s1
	s_cbranch_execz .LBB0_16
; %bb.15:
	ds_load_b128 v[8:11], v72
	ds_load_b128 v[48:51], v69 offset:960
	ds_load_b128 v[52:55], v69 offset:1920
	;; [unrolled: 1-line block ×16, first 2 shown]
.LBB0_16:
	s_wait_alu 0xfffe
	s_or_b32 exec_lo, exec_lo, s2
	v_and_b32_e32 v71, 1, v68
	s_mov_b32 s2, 0x2a9d6da3
	s_mov_b32 s18, 0x7c9e640b
	;; [unrolled: 1-line block ×4, first 2 shown]
	v_lshlrev_b32_e32 v80, 8, v71
	s_mov_b32 s6, 0x75d4884
	s_mov_b32 s26, 0xeb564b22
	;; [unrolled: 1-line block ×4, first 2 shown]
	s_clause 0xf
	global_load_b128 v[84:87], v80, s[4:5]
	global_load_b128 v[88:91], v80, s[4:5] offset:240
	global_load_b128 v[92:95], v80, s[4:5] offset:16
	;; [unrolled: 1-line block ×15, first 2 shown]
	s_mov_b32 s7, 0x3fe7a5f6
	s_mov_b32 s27, 0xbfefdd0d
	;; [unrolled: 1-line block ×21, first 2 shown]
	s_wait_alu 0xfffe
	s_mov_b32 s34, s2
	s_mov_b32 s36, 0x910ea3b9
	;; [unrolled: 1-line block ×13, first 2 shown]
	global_wb scope:SCOPE_SE
	s_wait_loadcnt_dscnt 0x0
	s_barrier_signal -1
	s_barrier_wait -1
	global_inv scope:SCOPE_SE
	v_mul_f64_e32 v[124:125], v[50:51], v[86:87]
	v_mul_f64_e32 v[86:87], v[48:49], v[86:87]
	v_mul_f64_e32 v[126:127], v[64:65], v[90:91]
	v_mul_f64_e32 v[90:91], v[66:67], v[90:91]
	v_mul_f64_e32 v[128:129], v[54:55], v[94:95]
	v_mul_f64_e32 v[94:95], v[52:53], v[94:95]
	v_mul_f64_e32 v[146:147], v[60:61], v[98:99]
	v_mul_f64_e32 v[98:99], v[62:63], v[98:99]
	v_mul_f64_e32 v[188:189], v[4:5], v[182:183]
	v_fma_f64 v[204:205], v[48:49], v[84:85], -v[124:125]
	v_fma_f64 v[206:207], v[50:51], v[84:85], v[86:87]
	v_fma_f64 v[50:51], v[66:67], v[88:89], v[126:127]
	v_fma_f64 v[48:49], v[64:65], v[88:89], -v[90:91]
	v_mul_f64_e32 v[84:85], v[46:47], v[102:103]
	v_mul_f64_e32 v[86:87], v[44:45], v[102:103]
	;; [unrolled: 1-line block ×4, first 2 shown]
	v_fma_f64 v[64:65], v[52:53], v[92:93], -v[128:129]
	v_fma_f64 v[66:67], v[54:55], v[92:93], v[94:95]
	v_fma_f64 v[54:55], v[62:63], v[96:97], v[146:147]
	v_fma_f64 v[52:53], v[60:61], v[96:97], -v[98:99]
	v_mul_f64_e32 v[92:93], v[34:35], v[110:111]
	v_mul_f64_e32 v[94:95], v[32:33], v[110:111]
	;; [unrolled: 1-line block ×6, first 2 shown]
	v_add_f64_e64 v[208:209], v[206:207], -v[50:51]
	v_add_f64_e64 v[210:211], v[204:205], -v[48:49]
	v_fma_f64 v[60:61], v[44:45], v[100:101], -v[84:85]
	v_fma_f64 v[62:63], v[46:47], v[100:101], v[86:87]
	v_fma_f64 v[44:45], v[58:59], v[104:105], v[88:89]
	v_fma_f64 v[46:47], v[56:57], v[104:105], -v[90:91]
	v_add_f64_e32 v[212:213], v[204:205], v[48:49]
	v_add_f64_e32 v[214:215], v[206:207], v[50:51]
	v_add_f64_e64 v[90:91], v[66:67], -v[54:55]
	v_add_f64_e64 v[81:82], v[64:65], -v[52:53]
	v_mul_f64_e32 v[86:87], v[14:15], v[118:119]
	v_mul_f64_e32 v[88:89], v[12:13], v[118:119]
	v_mul_f64_e32 v[100:101], v[38:39], v[122:123]
	v_fma_f64 v[58:59], v[32:33], v[108:109], -v[92:93]
	v_fma_f64 v[84:85], v[34:35], v[108:109], v[94:95]
	v_fma_f64 v[42:43], v[42:43], v[112:113], v[98:99]
	v_fma_f64 v[40:41], v[40:41], v[112:113], -v[96:97]
	v_add_f64_e32 v[34:35], v[64:65], v[52:53]
	v_add_f64_e32 v[124:125], v[66:67], v[54:55]
	v_mul_f64_e32 v[108:109], v[22:23], v[132:133]
	v_mul_f64_e32 v[112:113], v[30:31], v[136:137]
	;; [unrolled: 1-line block ×11, first 2 shown]
	v_add_f64_e64 v[114:115], v[62:63], -v[44:45]
	v_add_f64_e64 v[32:33], v[60:61], -v[46:47]
	v_add_f64_e32 v[128:129], v[62:63], v[44:45]
	v_mul_f64_e32 v[156:157], s[26:27], v[90:91]
	v_mul_f64_e32 v[158:159], s[26:27], v[81:82]
	;; [unrolled: 1-line block ×4, first 2 shown]
	v_fma_f64 v[92:93], v[12:13], v[116:117], -v[86:87]
	v_fma_f64 v[94:95], v[14:15], v[116:117], v[88:89]
	v_fma_f64 v[86:87], v[36:37], v[120:121], -v[100:101]
	v_fma_f64 v[88:89], v[38:39], v[120:121], v[102:103]
	v_add_f64_e32 v[36:37], v[60:61], v[46:47]
	v_add_f64_e64 v[126:127], v[84:85], -v[42:43]
	v_add_f64_e64 v[38:39], v[58:59], -v[40:41]
	v_add_f64_e32 v[132:133], v[84:85], v[42:43]
	v_fma_f64 v[28:29], v[28:29], v[134:135], -v[112:113]
	v_fma_f64 v[96:97], v[212:213], s[6:7], v[216:217]
	v_fma_f64 v[98:99], v[214:215], s[6:7], -v[218:219]
	v_fma_f64 v[104:105], v[212:213], s[10:11], v[220:221]
	v_fma_f64 v[106:107], v[214:215], s[10:11], -v[222:223]
	v_mul_f64_e32 v[164:165], s[14:15], v[114:115]
	v_mul_f64_e32 v[166:167], s[14:15], v[32:33]
	;; [unrolled: 1-line block ×4, first 2 shown]
	v_fma_f64 v[12:13], v[34:35], s[20:21], v[156:157]
	v_fma_f64 v[14:15], v[124:125], s[20:21], -v[158:159]
	v_fma_f64 v[100:101], v[34:35], s[16:17], v[146:147]
	v_fma_f64 v[102:103], v[124:125], s[16:17], -v[150:151]
	v_mul_f64_e32 v[236:237], s[44:45], v[126:127]
	v_mul_f64_e32 v[238:239], s[44:45], v[38:39]
	;; [unrolled: 1-line block ×4, first 2 shown]
	v_add_f64_e32 v[116:117], v[8:9], v[96:97]
	v_add_f64_e32 v[120:121], v[10:11], v[98:99]
	v_add_f64_e32 v[104:105], v[8:9], v[104:105]
	v_add_f64_e32 v[106:107], v[10:11], v[106:107]
	v_fma_f64 v[98:99], v[20:21], v[130:131], -v[108:109]
	v_fma_f64 v[108:109], v[22:23], v[130:131], v[110:111]
	v_fma_f64 v[96:97], v[30:31], v[134:135], v[118:119]
	v_add_f64_e32 v[20:21], v[58:59], v[40:41]
	v_add_f64_e64 v[130:131], v[94:95], -v[88:89]
	v_add_f64_e64 v[22:23], v[92:93], -v[86:87]
	v_fma_f64 v[112:113], v[36:37], s[16:17], v[164:165]
	v_fma_f64 v[118:119], v[128:129], s[16:17], -v[166:167]
	v_fma_f64 v[148:149], v[36:37], s[22:23], v[152:153]
	v_fma_f64 v[184:185], v[128:129], s[22:23], -v[154:155]
	v_fma_f64 v[110:111], v[0:1], v[138:139], -v[122:123]
	v_fma_f64 v[122:123], v[2:3], v[138:139], v[136:137]
	v_add_f64_e32 v[136:137], v[94:95], v[88:89]
	v_fma_f64 v[2:3], v[132:133], s[22:23], -v[238:239]
	v_add_f64_e32 v[12:13], v[12:13], v[116:117]
	v_add_f64_e32 v[14:15], v[14:15], v[120:121]
	v_add_f64_e32 v[100:101], v[100:101], v[104:105]
	v_add_f64_e32 v[102:103], v[102:103], v[106:107]
	v_mul_f64_e32 v[116:117], v[18:19], v[178:179]
	v_mul_f64_e32 v[120:121], v[16:17], v[178:179]
	;; [unrolled: 1-line block ×3, first 2 shown]
	v_fma_f64 v[104:105], v[24:25], v[142:143], -v[140:141]
	v_fma_f64 v[106:107], v[26:27], v[142:143], v[144:145]
	v_add_f64_e32 v[24:25], v[92:93], v[86:87]
	v_add_f64_e64 v[134:135], v[108:109], -v[96:97]
	v_add_f64_e64 v[26:27], v[98:99], -v[28:29]
	v_mul_f64_e32 v[182:183], s[28:29], v[130:131]
	v_mul_f64_e32 v[186:187], s[28:29], v[22:23]
	;; [unrolled: 1-line block ×4, first 2 shown]
	v_fma_f64 v[0:1], v[20:21], s[22:23], v[236:237]
	v_fma_f64 v[142:143], v[20:21], s[30:31], v[160:161]
	v_fma_f64 v[144:145], v[132:133], s[30:31], -v[162:163]
	v_add_f64_e32 v[140:141], v[108:109], v[96:97]
	v_add_f64_e32 v[12:13], v[112:113], v[12:13]
	;; [unrolled: 1-line block ×5, first 2 shown]
	v_fma_f64 v[56:57], v[16:17], v[176:177], -v[116:117]
	v_fma_f64 v[116:117], v[18:19], v[176:177], v[120:121]
	v_fma_f64 v[30:31], v[4:5], v[180:181], -v[178:179]
	v_fma_f64 v[118:119], v[6:7], v[180:181], v[188:189]
	v_add_f64_e32 v[16:17], v[98:99], v[28:29]
	v_add_f64_e64 v[138:139], v[122:123], -v[106:107]
	v_add_f64_e64 v[18:19], v[110:111], -v[104:105]
	v_mul_f64_e32 v[190:191], s[24:25], v[134:135]
	v_mul_f64_e32 v[194:195], s[24:25], v[26:27]
	;; [unrolled: 1-line block ×4, first 2 shown]
	v_fma_f64 v[4:5], v[24:25], s[36:37], v[182:183]
	v_fma_f64 v[6:7], v[136:137], s[36:37], -v[186:187]
	v_fma_f64 v[112:113], v[24:25], s[6:7], v[172:173]
	v_fma_f64 v[148:149], v[136:137], s[6:7], -v[174:175]
	v_add_f64_e32 v[0:1], v[0:1], v[12:13]
	v_add_f64_e32 v[2:3], v[2:3], v[14:15]
	;; [unrolled: 1-line block ×6, first 2 shown]
	v_add_f64_e64 v[102:103], v[56:57], -v[30:31]
	v_add_f64_e64 v[142:143], v[116:117], -v[118:119]
	v_mul_f64_e32 v[196:197], s[40:41], v[138:139]
	v_mul_f64_e32 v[198:199], s[40:41], v[18:19]
	;; [unrolled: 1-line block ×4, first 2 shown]
	v_fma_f64 v[224:225], v[16:17], s[30:31], v[190:191]
	v_fma_f64 v[226:227], v[140:141], s[30:31], -v[194:195]
	v_fma_f64 v[228:229], v[16:17], s[42:43], v[120:121]
	v_fma_f64 v[230:231], v[140:141], s[42:43], -v[178:179]
	v_add_f64_e32 v[0:1], v[4:5], v[0:1]
	v_add_f64_e32 v[2:3], v[6:7], v[2:3]
	v_add_f64_e32 v[4:5], v[112:113], v[12:13]
	v_add_f64_e32 v[6:7], v[148:149], v[14:15]
	v_add_f64_e32 v[112:113], v[56:57], v[30:31]
	v_add_f64_e32 v[148:149], v[116:117], v[118:119]
	v_mul_f64_e32 v[202:203], s[46:47], v[102:103]
	v_mul_f64_e32 v[200:201], s[46:47], v[142:143]
	;; [unrolled: 1-line block ×4, first 2 shown]
	v_fma_f64 v[12:13], v[100:101], s[10:11], v[196:197]
	v_fma_f64 v[14:15], v[144:145], s[10:11], -v[198:199]
	v_fma_f64 v[232:233], v[100:101], s[20:21], v[180:181]
	v_fma_f64 v[234:235], v[144:145], s[20:21], -v[184:185]
	v_add_f64_e32 v[0:1], v[224:225], v[0:1]
	v_add_f64_e32 v[2:3], v[226:227], v[2:3]
	;; [unrolled: 1-line block ×4, first 2 shown]
	v_fma_f64 v[226:227], v[148:149], s[42:43], -v[202:203]
	v_fma_f64 v[224:225], v[112:113], s[42:43], v[200:201]
	v_fma_f64 v[228:229], v[112:113], s[36:37], v[188:189]
	v_fma_f64 v[230:231], v[148:149], s[36:37], -v[192:193]
	v_add_f64_e32 v[0:1], v[12:13], v[0:1]
	v_add_f64_e32 v[2:3], v[14:15], v[2:3]
	;; [unrolled: 1-line block ×4, first 2 shown]
	s_delay_alu instid0(VALU_DEP_4) | instskip(NEXT) | instid1(VALU_DEP_4)
	v_add_f64_e32 v[4:5], v[224:225], v[0:1]
	v_add_f64_e32 v[6:7], v[226:227], v[2:3]
	s_delay_alu instid0(VALU_DEP_4) | instskip(NEXT) | instid1(VALU_DEP_4)
	v_add_f64_e32 v[0:1], v[228:229], v[12:13]
	v_add_f64_e32 v[2:3], v[230:231], v[14:15]
	s_and_saveexec_b32 s33, s1
	s_cbranch_execz .LBB0_18
; %bb.17:
	v_mul_f64_e32 v[12:13], s[10:11], v[214:215]
	s_clause 0x2
	scratch_store_b64 off, v[238:239], off offset:80
	scratch_store_b64 off, v[146:147], off offset:96
	;; [unrolled: 1-line block ×3, first 2 shown]
	v_mul_f64_e32 v[14:15], s[36:37], v[214:215]
	s_mov_b32 s53, 0x3fefdd0d
	s_mov_b32 s52, s26
	;; [unrolled: 1-line block ×6, first 2 shown]
	v_mov_b32_e32 v80, v75
	scratch_store_b64 off, v[48:49], off offset:152 ; 8-byte Folded Spill
	v_mul_f64_e32 v[48:49], s[20:21], v[148:149]
	v_add_f64_e32 v[230:231], v[222:223], v[12:13]
	v_mul_f64_e32 v[12:13], s[10:11], v[212:213]
	v_mul_f64_e32 v[222:223], s[20:21], v[214:215]
	v_fma_f64 v[226:227], v[210:211], s[28:29], v[14:15]
	v_fma_f64 v[228:229], v[210:211], s[48:49], v[14:15]
	v_mul_f64_e32 v[14:15], s[44:45], v[208:209]
	v_add_f64_e64 v[238:239], v[12:13], -v[220:221]
	v_mul_f64_e32 v[12:13], s[6:7], v[214:215]
	v_mul_f64_e32 v[220:221], s[30:31], v[214:215]
	v_fma_f64 v[240:241], v[210:211], s[52:53], v[222:223]
	v_fma_f64 v[244:245], v[210:211], s[26:27], v[222:223]
	v_mul_f64_e32 v[222:223], s[38:39], v[208:209]
	v_fma_f64 v[248:249], v[212:213], s[22:23], v[14:15]
	v_fma_f64 v[250:251], v[212:213], s[22:23], -v[14:15]
	v_add_f64_e32 v[14:15], v[10:11], v[206:207]
	v_add_f64_e32 v[254:255], v[10:11], v[226:227]
	;; [unrolled: 1-line block ×4, first 2 shown]
	v_mul_f64_e32 v[12:13], s[6:7], v[212:213]
	v_fma_f64 v[234:235], v[210:211], s[24:25], v[220:221]
	s_delay_alu instid0(VALU_DEP_2) | instskip(SKIP_3) | instid1(VALU_DEP_4)
	v_add_f64_e64 v[242:243], v[12:13], -v[216:217]
	v_mul_f64_e32 v[12:13], s[22:23], v[214:215]
	v_mul_f64_e32 v[216:217], s[16:17], v[214:215]
	v_mul_f64_e32 v[214:215], s[42:43], v[214:215]
	v_add_f64_e32 v[242:243], v[8:9], v[242:243]
	s_delay_alu instid0(VALU_DEP_4) | instskip(NEXT) | instid1(VALU_DEP_4)
	v_fma_f64 v[224:225], v[210:211], s[12:13], v[12:13]
	v_fma_f64 v[232:233], v[210:211], s[50:51], v[216:217]
	s_delay_alu instid0(VALU_DEP_4)
	v_fma_f64 v[246:247], v[210:211], s[46:47], v[214:215]
	v_fma_f64 v[146:147], v[210:211], s[38:39], v[214:215]
	v_mul_f64_e32 v[214:215], s[14:15], v[208:209]
	v_fma_f64 v[12:13], v[210:211], s[44:45], v[12:13]
	v_fma_f64 v[216:217], v[210:211], s[14:15], v[216:217]
	v_add_f64_e32 v[176:177], v[10:11], v[232:233]
	s_delay_alu instid0(VALU_DEP_4) | instskip(NEXT) | instid1(VALU_DEP_3)
	v_fma_f64 v[150:151], v[212:213], s[16:17], v[214:215]
	v_add_f64_e32 v[226:227], v[10:11], v[216:217]
	v_dual_mov_b32 v217, v121 :: v_dual_mov_b32 v216, v120
	v_dual_mov_b32 v121, v55 :: v_dual_mov_b32 v120, v54
	v_mul_f64_e32 v[54:55], s[14:15], v[134:135]
	v_add_f64_e32 v[150:151], v[8:9], v[150:151]
	s_clause 0x1
	scratch_store_b64 off, v[162:163], off offset:136
	scratch_store_b64 off, v[150:151], off offset:64
	v_add_f64_e32 v[150:151], v[10:11], v[234:235]
	scratch_store_b64 off, v[154:155], off offset:112 ; 8-byte Folded Spill
	v_add_f64_e32 v[234:235], v[10:11], v[244:245]
	scratch_store_b64 off, v[150:151], off offset:40 ; 8-byte Folded Spill
	;; [unrolled: 2-line block ×3, first 2 shown]
	v_fma_f64 v[236:237], v[210:211], s[54:55], v[220:221]
	v_mul_f64_e32 v[220:221], s[26:27], v[208:209]
	v_mul_f64_e32 v[210:211], s[48:49], v[208:209]
	v_mul_f64_e32 v[208:209], s[54:55], v[208:209]
	v_add_f64_e32 v[240:241], v[10:11], v[218:219]
	scratch_store_b64 off, v[150:151], off offset:24 ; 8-byte Folded Spill
	v_fma_f64 v[154:155], v[212:213], s[20:21], v[220:221]
	v_fma_f64 v[252:253], v[212:213], s[36:37], v[210:211]
	v_fma_f64 v[210:211], v[212:213], s[36:37], -v[210:211]
	v_fma_f64 v[162:163], v[212:213], s[30:31], v[208:209]
	v_fma_f64 v[208:209], v[212:213], s[30:31], -v[208:209]
	v_add_f64_e32 v[150:151], v[8:9], v[154:155]
	scratch_store_b64 off, v[152:153], off offset:104 ; 8-byte Folded Spill
	v_fma_f64 v[152:153], v[212:213], s[16:17], -v[214:215]
	v_dual_mov_b32 v215, v165 :: v_dual_mov_b32 v214, v164
	v_add_f64_e32 v[164:165], v[10:11], v[224:225]
	v_add_f64_e32 v[252:253], v[8:9], v[252:253]
	scratch_store_b64 off, v[150:151], off offset:16 ; 8-byte Folded Spill
	v_add_f64_e32 v[150:151], v[10:11], v[246:247]
	s_clause 0x1
	scratch_store_b64 off, v[156:157], off offset:144
	scratch_store_b64 off, v[176:177], off offset:72
	v_fma_f64 v[156:157], v[212:213], s[20:21], -v[220:221]
	v_dual_mov_b32 v221, v159 :: v_dual_mov_b32 v220, v158
	v_fma_f64 v[158:159], v[212:213], s[42:43], v[222:223]
	v_add_f64_e32 v[224:225], v[8:9], v[152:153]
	v_add_f64_e32 v[246:247], v[10:11], v[146:147]
	v_mul_f64_e32 v[146:147], s[42:43], v[124:125]
	v_mul_f64_e32 v[152:153], s[36:37], v[128:129]
	;; [unrolled: 1-line block ×3, first 2 shown]
	scratch_store_b64 off, v[150:151], off offset:8 ; 8-byte Folded Spill
	v_add_f64_e32 v[232:233], v[8:9], v[156:157]
	v_add_f64_e32 v[150:151], v[8:9], v[158:159]
	s_clause 0x1
	scratch_store_b64 off, v[160:161], off offset:128
	scratch_store_b64 off, v[14:15], off offset:32
	v_fma_f64 v[160:161], v[212:213], s[42:43], -v[222:223]
	v_dual_mov_b32 v213, v167 :: v_dual_mov_b32 v212, v166
	v_add_f64_e32 v[166:167], v[8:9], v[248:249]
	v_add_f64_e32 v[14:15], v[10:11], v[12:13]
	;; [unrolled: 1-line block ×9, first 2 shown]
	v_fma_f64 v[156:157], v[32:33], s[28:29], v[152:153]
	v_dual_mov_b32 v223, v119 :: v_dual_mov_b32 v222, v118
	scratch_store_b64 off, v[150:151], off  ; 8-byte Folded Spill
	v_mul_f64_e32 v[150:151], s[46:47], v[90:91]
	v_add_f64_e32 v[244:245], v[8:9], v[160:161]
	v_add_f64_e32 v[8:9], v[8:9], v[204:205]
	v_dual_mov_b32 v205, v175 :: v_dual_mov_b32 v204, v174
	v_mul_f64_e32 v[174:175], s[48:49], v[138:139]
	scratch_store_b64 off, v[10:11], off offset:56 ; 8-byte Folded Spill
	v_fma_f64 v[10:11], v[34:35], s[42:43], v[150:151]
	scratch_store_b64 off, v[8:9], off offset:48 ; 8-byte Folded Spill
	v_fma_f64 v[8:9], v[81:82], s[38:39], v[146:147]
	v_fma_f64 v[146:147], v[81:82], s[46:47], v[146:147]
	s_clause 0x3
	scratch_store_b64 off, v[46:47], off offset:168
	scratch_store_b64 off, v[44:45], off offset:176
	;; [unrolled: 1-line block ×4, first 2 shown]
	v_mul_f64_e32 v[50:51], s[52:53], v[142:143]
	v_dual_mov_b32 v46, v116 :: v_dual_mov_b32 v47, v117
	v_dual_mov_b32 v86, v168 :: v_dual_mov_b32 v87, v169
	v_mul_f64_e32 v[168:169], s[30:31], v[136:137]
	v_dual_mov_b32 v44, v52 :: v_dual_mov_b32 v45, v53
	v_mul_f64_e32 v[52:53], s[16:17], v[140:141]
	v_add_f64_e32 v[10:11], v[10:11], v[166:167]
	v_add_f64_e32 v[8:9], v[8:9], v[164:165]
	v_add_f64_e32 v[14:15], v[146:147], v[14:15]
	v_fma_f64 v[146:147], v[34:35], s[42:43], -v[150:151]
	s_delay_alu instid0(VALU_DEP_3) | instskip(SKIP_1) | instid1(VALU_DEP_3)
	v_add_f64_e32 v[8:9], v[156:157], v[8:9]
	v_mul_f64_e32 v[156:157], s[48:49], v[114:115]
	v_add_f64_e32 v[12:13], v[146:147], v[12:13]
	v_fma_f64 v[146:147], v[32:33], s[48:49], v[152:153]
	v_mul_f64_e32 v[152:153], s[20:21], v[128:129]
	s_delay_alu instid0(VALU_DEP_4) | instskip(NEXT) | instid1(VALU_DEP_3)
	v_fma_f64 v[158:159], v[36:37], s[36:37], v[156:157]
	v_add_f64_e32 v[14:15], v[146:147], v[14:15]
	v_fma_f64 v[146:147], v[36:37], s[36:37], -v[156:157]
	s_delay_alu instid0(VALU_DEP_3) | instskip(SKIP_1) | instid1(VALU_DEP_3)
	v_add_f64_e32 v[10:11], v[158:159], v[10:11]
	v_mul_f64_e32 v[158:159], s[6:7], v[132:133]
	v_add_f64_e32 v[12:13], v[146:147], v[12:13]
	s_delay_alu instid0(VALU_DEP_2) | instskip(SKIP_1) | instid1(VALU_DEP_2)
	v_fma_f64 v[160:161], v[38:39], s[2:3], v[158:159]
	v_fma_f64 v[146:147], v[38:39], s[34:35], v[158:159]
	v_add_f64_e32 v[8:9], v[160:161], v[8:9]
	v_mul_f64_e32 v[160:161], s[34:35], v[126:127]
	s_delay_alu instid0(VALU_DEP_3) | instskip(NEXT) | instid1(VALU_DEP_2)
	v_add_f64_e32 v[14:15], v[146:147], v[14:15]
	v_fma_f64 v[162:163], v[20:21], s[6:7], v[160:161]
	v_fma_f64 v[146:147], v[20:21], s[6:7], -v[160:161]
	s_delay_alu instid0(VALU_DEP_2) | instskip(SKIP_1) | instid1(VALU_DEP_3)
	v_add_f64_e32 v[10:11], v[162:163], v[10:11]
	v_mul_f64_e32 v[162:163], s[16:17], v[136:137]
	v_add_f64_e32 v[12:13], v[146:147], v[12:13]
	s_delay_alu instid0(VALU_DEP_2) | instskip(SKIP_1) | instid1(VALU_DEP_2)
	v_fma_f64 v[164:165], v[22:23], s[50:51], v[162:163]
	v_fma_f64 v[146:147], v[22:23], s[14:15], v[162:163]
	v_add_f64_e32 v[8:9], v[164:165], v[8:9]
	v_mul_f64_e32 v[164:165], s[14:15], v[130:131]
	s_delay_alu instid0(VALU_DEP_3) | instskip(NEXT) | instid1(VALU_DEP_2)
	v_add_f64_e32 v[14:15], v[146:147], v[14:15]
	v_fma_f64 v[166:167], v[24:25], s[16:17], v[164:165]
	v_fma_f64 v[146:147], v[24:25], s[16:17], -v[164:165]
	s_delay_alu instid0(VALU_DEP_2) | instskip(SKIP_1) | instid1(VALU_DEP_3)
	;; [unrolled: 13-line block ×3, first 2 shown]
	v_add_f64_e32 v[10:11], v[206:207], v[10:11]
	v_mul_f64_e32 v[206:207], s[30:31], v[144:145]
	v_add_f64_e32 v[12:13], v[146:147], v[12:13]
	s_delay_alu instid0(VALU_DEP_2) | instskip(SKIP_1) | instid1(VALU_DEP_2)
	v_fma_f64 v[154:155], v[18:19], s[24:25], v[206:207]
	v_fma_f64 v[146:147], v[18:19], s[54:55], v[206:207]
	v_add_f64_e32 v[8:9], v[154:155], v[8:9]
	v_mul_f64_e32 v[154:155], s[54:55], v[138:139]
	s_delay_alu instid0(VALU_DEP_3) | instskip(NEXT) | instid1(VALU_DEP_2)
	v_add_f64_e32 v[14:15], v[146:147], v[14:15]
	v_fma_f64 v[210:211], v[100:101], s[30:31], v[154:155]
	v_fma_f64 v[146:147], v[100:101], s[30:31], -v[154:155]
	v_fma_f64 v[154:155], v[32:33], s[52:53], v[152:153]
	s_delay_alu instid0(VALU_DEP_3) | instskip(SKIP_4) | instid1(VALU_DEP_4)
	v_add_f64_e32 v[210:211], v[210:211], v[10:11]
	v_fma_f64 v[10:11], v[102:103], s[26:27], v[48:49]
	v_fma_f64 v[48:49], v[102:103], s[52:53], v[48:49]
	v_add_f64_e32 v[12:13], v[146:147], v[12:13]
	v_mul_f64_e32 v[146:147], s[40:41], v[90:91]
	v_add_f64_e32 v[118:119], v[10:11], v[8:9]
	v_fma_f64 v[8:9], v[112:113], s[20:21], v[50:51]
	v_fma_f64 v[50:51], v[112:113], s[20:21], -v[50:51]
	v_add_f64_e32 v[14:15], v[48:49], v[14:15]
	v_mul_f64_e32 v[48:49], s[10:11], v[124:125]
	v_fma_f64 v[150:151], v[34:35], s[10:11], v[146:147]
	v_fma_f64 v[146:147], v[34:35], s[10:11], -v[146:147]
	v_dual_mov_b32 v10, v30 :: v_dual_mov_b32 v11, v31
	v_dual_mov_b32 v30, v56 :: v_dual_mov_b32 v31, v57
	;; [unrolled: 1-line block ×4, first 2 shown]
	v_mul_f64_e32 v[172:173], s[54:55], v[130:131]
	v_dual_mov_b32 v170, v74 :: v_dual_mov_b32 v75, v29
	v_mov_b32_e32 v74, v28
	v_dual_mov_b32 v28, v58 :: v_dual_mov_b32 v29, v59
	v_dual_mov_b32 v58, v60 :: v_dual_mov_b32 v59, v61
	;; [unrolled: 1-line block ×3, first 2 shown]
	v_mul_f64_e32 v[64:65], s[16:17], v[148:149]
	v_add_f64_e32 v[116:117], v[8:9], v[210:211]
	v_add_f64_e32 v[12:13], v[50:51], v[12:13]
	v_mul_f64_e32 v[8:9], s[36:37], v[144:145]
	v_fma_f64 v[50:51], v[81:82], s[18:19], v[48:49]
	v_add_f64_e32 v[150:151], v[150:151], v[252:253]
	v_fma_f64 v[48:49], v[81:82], s[40:41], v[48:49]
	v_add_f64_e32 v[146:147], v[146:147], v[248:249]
	s_delay_alu instid0(VALU_DEP_4) | instskip(NEXT) | instid1(VALU_DEP_3)
	v_add_f64_e32 v[50:51], v[50:51], v[254:255]
	v_add_f64_e32 v[48:49], v[48:49], v[250:251]
	s_delay_alu instid0(VALU_DEP_2) | instskip(SKIP_1) | instid1(VALU_DEP_1)
	v_add_f64_e32 v[50:51], v[154:155], v[50:51]
	v_mul_f64_e32 v[154:155], s[26:27], v[114:115]
	v_fma_f64 v[156:157], v[36:37], s[20:21], v[154:155]
	s_delay_alu instid0(VALU_DEP_1) | instskip(SKIP_1) | instid1(VALU_DEP_1)
	v_add_f64_e32 v[150:151], v[156:157], v[150:151]
	v_mul_f64_e32 v[156:157], s[16:17], v[132:133]
	v_fma_f64 v[158:159], v[38:39], s[14:15], v[156:157]
	s_delay_alu instid0(VALU_DEP_1) | instskip(SKIP_1) | instid1(VALU_DEP_1)
	;; [unrolled: 4-line block ×10, first 2 shown]
	v_add_f64_e32 v[254:255], v[252:253], v[50:51]
	v_mul_f64_e32 v[50:51], s[54:55], v[142:143]
	v_fma_f64 v[252:253], v[112:113], s[30:31], v[50:51]
	v_fma_f64 v[50:51], v[112:113], s[30:31], -v[50:51]
	s_delay_alu instid0(VALU_DEP_2) | instskip(SKIP_1) | instid1(VALU_DEP_1)
	v_add_f64_e32 v[252:253], v[252:253], v[150:151]
	v_fma_f64 v[150:151], v[32:33], s[26:27], v[152:153]
	v_add_f64_e32 v[48:49], v[150:151], v[48:49]
	v_fma_f64 v[150:151], v[36:37], s[20:21], -v[154:155]
	v_mul_f64_e32 v[154:155], s[10:11], v[128:129]
	s_delay_alu instid0(VALU_DEP_2) | instskip(SKIP_1) | instid1(VALU_DEP_3)
	v_add_f64_e32 v[146:147], v[150:151], v[146:147]
	v_fma_f64 v[150:151], v[38:39], s[50:51], v[156:157]
	v_fma_f64 v[152:153], v[32:33], s[18:19], v[154:155]
	scratch_load_b64 v[156:157], off, off offset:144 th:TH_LOAD_LU ; 8-byte Folded Reload
	v_add_f64_e32 v[48:49], v[150:151], v[48:49]
	v_fma_f64 v[150:151], v[20:21], s[16:17], -v[158:159]
	v_mul_f64_e32 v[158:159], s[16:17], v[36:37]
	s_delay_alu instid0(VALU_DEP_2) | instskip(SKIP_2) | instid1(VALU_DEP_4)
	v_add_f64_e32 v[146:147], v[150:151], v[146:147]
	v_fma_f64 v[150:151], v[22:23], s[38:39], v[160:161]
	v_mul_f64_e32 v[160:161], s[22:23], v[132:133]
	v_add_f64_e64 v[158:159], v[158:159], -v[214:215]
	s_delay_alu instid0(VALU_DEP_3)
	v_add_f64_e32 v[48:49], v[150:151], v[48:49]
	v_fma_f64 v[150:151], v[24:25], s[42:43], -v[162:163]
	scratch_load_b64 v[162:163], off, off offset:80 th:TH_LOAD_LU ; 8-byte Folded Reload
	v_add_f64_e32 v[146:147], v[150:151], v[146:147]
	v_fma_f64 v[150:151], v[26:27], s[44:45], v[164:165]
	scratch_load_b64 v[164:165], off, off offset:88 th:TH_LOAD_LU ; 8-byte Folded Reload
	v_add_f64_e32 v[48:49], v[150:151], v[48:49]
	v_fma_f64 v[150:151], v[16:17], s[22:23], -v[166:167]
	v_mul_f64_e32 v[166:167], s[36:37], v[24:25]
	s_delay_alu instid0(VALU_DEP_2) | instskip(SKIP_2) | instid1(VALU_DEP_4)
	v_add_f64_e32 v[146:147], v[150:151], v[146:147]
	v_fma_f64 v[150:151], v[18:19], s[34:35], v[206:207]
	v_mul_f64_e32 v[206:207], s[18:19], v[114:115]
	v_add_f64_e64 v[166:167], v[166:167], -v[182:183]
	v_mul_f64_e32 v[182:183], s[30:31], v[140:141]
	s_delay_alu instid0(VALU_DEP_4) | instskip(SKIP_2) | instid1(VALU_DEP_4)
	v_add_f64_e32 v[48:49], v[150:151], v[48:49]
	v_fma_f64 v[150:151], v[100:101], s[6:7], -v[208:209]
	v_mul_f64_e32 v[208:209], s[20:21], v[132:133]
	v_add_f64_e32 v[182:183], v[194:195], v[182:183]
	v_mul_f64_e32 v[194:195], s[36:37], v[140:141]
	s_delay_alu instid0(VALU_DEP_4) | instskip(SKIP_2) | instid1(VALU_DEP_3)
	v_add_f64_e32 v[146:147], v[150:151], v[146:147]
	v_fma_f64 v[150:151], v[102:103], s[54:55], v[210:211]
	v_mul_f64_e32 v[210:211], s[26:27], v[126:127]
	v_add_f64_e32 v[248:249], v[50:51], v[146:147]
	s_delay_alu instid0(VALU_DEP_3) | instskip(SKIP_2) | instid1(VALU_DEP_2)
	v_add_f64_e32 v[250:251], v[150:151], v[48:49]
	v_mul_f64_e32 v[48:49], s[6:7], v[124:125]
	v_mul_f64_e32 v[146:147], s[2:3], v[90:91]
	v_fma_f64 v[50:51], v[81:82], s[2:3], v[48:49]
	s_delay_alu instid0(VALU_DEP_2) | instskip(NEXT) | instid1(VALU_DEP_2)
	v_fma_f64 v[150:151], v[34:35], s[6:7], -v[146:147]
	v_add_f64_e32 v[50:51], v[50:51], v[246:247]
	s_delay_alu instid0(VALU_DEP_2) | instskip(SKIP_3) | instid1(VALU_DEP_4)
	v_add_f64_e32 v[150:151], v[150:151], v[244:245]
	s_wait_loadcnt 0x1
	v_add_f64_e32 v[160:161], v[162:163], v[160:161]
	v_mul_f64_e32 v[162:163], s[22:23], v[20:21]
	v_add_f64_e32 v[50:51], v[152:153], v[50:51]
	v_fma_f64 v[152:153], v[36:37], s[10:11], -v[206:207]
	s_wait_loadcnt 0x0
	s_delay_alu instid0(VALU_DEP_3) | instskip(SKIP_1) | instid1(VALU_DEP_3)
	v_add_f64_e64 v[162:163], v[162:163], -v[164:165]
	v_mul_f64_e32 v[164:165], s[36:37], v[136:137]
	v_add_f64_e32 v[150:151], v[152:153], v[150:151]
	v_fma_f64 v[152:153], v[38:39], s[26:27], v[208:209]
	s_delay_alu instid0(VALU_DEP_3) | instskip(SKIP_1) | instid1(VALU_DEP_3)
	v_add_f64_e32 v[164:165], v[186:187], v[164:165]
	v_mul_f64_e32 v[186:187], s[30:31], v[16:17]
	v_add_f64_e32 v[50:51], v[152:153], v[50:51]
	v_fma_f64 v[152:153], v[20:21], s[20:21], -v[210:211]
	s_delay_alu instid0(VALU_DEP_3) | instskip(SKIP_1) | instid1(VALU_DEP_3)
	v_add_f64_e64 v[186:187], v[186:187], -v[190:191]
	v_mul_f64_e32 v[190:191], s[42:43], v[140:141]
	v_add_f64_e32 v[150:151], v[152:153], v[150:151]
	v_fma_f64 v[152:153], v[22:23], s[54:55], v[168:169]
	s_delay_alu instid0(VALU_DEP_3) | instskip(SKIP_1) | instid1(VALU_DEP_3)
	v_add_f64_e32 v[178:179], v[178:179], v[190:191]
	v_mul_f64_e32 v[190:191], s[42:43], v[16:17]
	v_add_f64_e32 v[50:51], v[152:153], v[50:51]
	v_fma_f64 v[152:153], v[24:25], s[30:31], -v[172:173]
	s_delay_alu instid0(VALU_DEP_3) | instskip(NEXT) | instid1(VALU_DEP_2)
	v_add_f64_e64 v[190:191], v[190:191], -v[216:217]
	v_add_f64_e32 v[150:151], v[152:153], v[150:151]
	v_fma_f64 v[152:153], v[26:27], s[14:15], v[52:53]
	s_delay_alu instid0(VALU_DEP_1) | instskip(SKIP_1) | instid1(VALU_DEP_1)
	v_add_f64_e32 v[50:51], v[152:153], v[50:51]
	v_fma_f64 v[152:153], v[16:17], s[16:17], -v[54:55]
	v_add_f64_e32 v[150:151], v[152:153], v[150:151]
	v_fma_f64 v[152:153], v[18:19], s[48:49], v[8:9]
	s_delay_alu instid0(VALU_DEP_1) | instskip(SKIP_1) | instid1(VALU_DEP_1)
	v_add_f64_e32 v[50:51], v[152:153], v[50:51]
	v_fma_f64 v[152:153], v[100:101], s[36:37], -v[174:175]
	v_add_f64_e32 v[150:151], v[152:153], v[150:151]
	v_fma_f64 v[152:153], v[102:103], s[44:45], v[176:177]
	s_delay_alu instid0(VALU_DEP_1) | instskip(SKIP_1) | instid1(VALU_DEP_1)
	v_add_f64_e32 v[246:247], v[152:153], v[50:51]
	v_mul_f64_e32 v[50:51], s[44:45], v[142:143]
	v_fma_f64 v[152:153], v[112:113], s[22:23], -v[50:51]
	s_delay_alu instid0(VALU_DEP_1) | instskip(SKIP_2) | instid1(VALU_DEP_2)
	v_add_f64_e32 v[244:245], v[152:153], v[150:151]
	v_mul_f64_e32 v[152:153], s[20:21], v[34:35]
	v_mul_f64_e32 v[150:151], s[20:21], v[124:125]
	v_add_f64_e64 v[152:153], v[152:153], -v[156:157]
	s_delay_alu instid0(VALU_DEP_2) | instskip(SKIP_1) | instid1(VALU_DEP_3)
	v_add_f64_e32 v[150:151], v[220:221], v[150:151]
	v_mul_f64_e32 v[156:157], s[16:17], v[128:129]
	v_add_f64_e32 v[152:153], v[152:153], v[242:243]
	s_delay_alu instid0(VALU_DEP_3) | instskip(NEXT) | instid1(VALU_DEP_3)
	v_add_f64_e32 v[150:151], v[150:151], v[240:241]
	v_add_f64_e32 v[156:157], v[212:213], v[156:157]
	s_delay_alu instid0(VALU_DEP_3) | instskip(SKIP_1) | instid1(VALU_DEP_3)
	v_add_f64_e32 v[152:153], v[158:159], v[152:153]
	v_mul_f64_e32 v[158:159], s[10:11], v[100:101]
	v_add_f64_e32 v[150:151], v[156:157], v[150:151]
	v_mul_f64_e32 v[156:157], s[10:11], v[144:145]
	s_delay_alu instid0(VALU_DEP_4) | instskip(NEXT) | instid1(VALU_DEP_4)
	v_add_f64_e32 v[152:153], v[162:163], v[152:153]
	v_add_f64_e64 v[158:159], v[158:159], -v[196:197]
	s_delay_alu instid0(VALU_DEP_4)
	v_add_f64_e32 v[150:151], v[160:161], v[150:151]
	v_mul_f64_e32 v[162:163], s[42:43], v[112:113]
	v_add_f64_e32 v[156:157], v[198:199], v[156:157]
	v_mul_f64_e32 v[160:161], s[42:43], v[148:149]
	v_mul_f64_e32 v[196:197], s[48:49], v[134:135]
	;; [unrolled: 1-line block ×3, first 2 shown]
	v_add_f64_e32 v[152:153], v[166:167], v[152:153]
	scratch_load_b64 v[166:167], off, off offset:136 th:TH_LOAD_LU ; 8-byte Folded Reload
	v_add_f64_e32 v[150:151], v[164:165], v[150:151]
	v_add_f64_e64 v[162:163], v[162:163], -v[200:201]
	v_mul_f64_e32 v[200:201], s[50:51], v[138:139]
	v_add_f64_e32 v[160:161], v[202:203], v[160:161]
	v_mul_f64_e32 v[202:203], s[6:7], v[148:149]
	scratch_load_b64 v[164:165], off, off offset:104 th:TH_LOAD_LU ; 8-byte Folded Reload
	v_add_f64_e32 v[152:153], v[186:187], v[152:153]
	scratch_load_b64 v[186:187], off, off offset:128 th:TH_LOAD_LU ; 8-byte Folded Reload
	v_add_f64_e32 v[150:151], v[182:183], v[150:151]
	v_mul_f64_e32 v[182:183], s[30:31], v[20:21]
	v_add_f64_e32 v[152:153], v[158:159], v[152:153]
	s_delay_alu instid0(VALU_DEP_3) | instskip(NEXT) | instid1(VALU_DEP_2)
	v_add_f64_e32 v[150:151], v[156:157], v[150:151]
	v_add_f64_e32 v[156:157], v[162:163], v[152:153]
	s_clause 0x1
	scratch_load_b64 v[152:153], off, off offset:120 th:TH_LOAD_LU
	scratch_load_b64 v[162:163], off, off offset:112 th:TH_LOAD_LU
	v_add_f64_e32 v[158:159], v[160:161], v[150:151]
	scratch_load_b64 v[160:161], off, off offset:96 th:TH_LOAD_LU ; 8-byte Folded Reload
	v_mul_f64_e32 v[150:151], s[16:17], v[124:125]
	s_wait_loadcnt 0x3
	v_add_f64_e64 v[182:183], v[182:183], -v[186:187]
	v_mul_f64_e32 v[186:187], s[6:7], v[24:25]
	s_delay_alu instid0(VALU_DEP_1)
	v_add_f64_e64 v[186:187], v[186:187], -v[77:78]
	v_dual_mov_b32 v77, v88 :: v_dual_mov_b32 v78, v89
	v_dual_mov_b32 v89, v63 :: v_dual_mov_b32 v88, v62
	v_dual_mov_b32 v62, v66 :: v_dual_mov_b32 v63, v67
	v_mul_f64_e32 v[66:67], s[14:15], v[142:143]
	s_wait_loadcnt 0x2
	v_add_f64_e32 v[150:151], v[152:153], v[150:151]
	v_mul_f64_e32 v[152:153], s[16:17], v[34:35]
	s_delay_alu instid0(VALU_DEP_2) | instskip(SKIP_1) | instid1(VALU_DEP_2)
	v_add_f64_e32 v[150:151], v[150:151], v[236:237]
	s_wait_loadcnt 0x0
	v_add_f64_e64 v[152:153], v[152:153], -v[160:161]
	v_mul_f64_e32 v[160:161], s[22:23], v[128:129]
	v_mul_f64_e32 v[236:237], s[10:11], v[132:133]
	s_delay_alu instid0(VALU_DEP_3) | instskip(NEXT) | instid1(VALU_DEP_3)
	v_add_f64_e32 v[152:153], v[152:153], v[238:239]
	v_add_f64_e32 v[160:161], v[162:163], v[160:161]
	v_mul_f64_e32 v[162:163], s[22:23], v[36:37]
	v_mul_f64_e32 v[238:239], s[28:29], v[90:91]
	s_delay_alu instid0(VALU_DEP_3) | instskip(NEXT) | instid1(VALU_DEP_3)
	v_add_f64_e32 v[150:151], v[160:161], v[150:151]
	v_add_f64_e64 v[162:163], v[162:163], -v[164:165]
	v_mul_f64_e32 v[164:165], s[30:31], v[132:133]
	v_mul_f64_e32 v[160:161], s[20:21], v[144:145]
	s_delay_alu instid0(VALU_DEP_3) | instskip(NEXT) | instid1(VALU_DEP_3)
	v_add_f64_e32 v[152:153], v[162:163], v[152:153]
	v_add_f64_e32 v[164:165], v[166:167], v[164:165]
	v_mul_f64_e32 v[166:167], s[6:7], v[136:137]
	v_mul_f64_e32 v[162:163], s[20:21], v[100:101]
	v_add_f64_e32 v[160:161], v[184:185], v[160:161]
	v_mul_f64_e32 v[184:185], s[24:25], v[114:115]
	v_add_f64_e32 v[152:153], v[182:183], v[152:153]
	v_add_f64_e32 v[150:151], v[164:165], v[150:151]
	;; [unrolled: 1-line block ×3, first 2 shown]
	v_add_f64_e64 v[162:163], v[162:163], -v[180:181]
	v_mul_f64_e32 v[164:165], s[36:37], v[148:149]
	v_mul_f64_e32 v[180:181], s[30:31], v[128:129]
	;; [unrolled: 1-line block ×5, first 2 shown]
	v_add_f64_e32 v[152:153], v[186:187], v[152:153]
	v_mul_f64_e32 v[186:187], s[42:43], v[132:133]
	v_add_f64_e32 v[150:151], v[166:167], v[150:151]
	v_mul_f64_e32 v[166:167], s[36:37], v[112:113]
	;; [unrolled: 2-line block ×3, first 2 shown]
	v_mul_f64_e32 v[132:133], s[36:37], v[132:133]
	v_add_f64_e32 v[152:153], v[190:191], v[152:153]
	v_mul_f64_e32 v[190:191], s[10:11], v[136:137]
	v_add_f64_e32 v[150:151], v[178:179], v[150:151]
	v_add_f64_e64 v[166:167], v[166:167], -v[188:189]
	v_mul_f64_e32 v[178:179], s[22:23], v[124:125]
	v_mul_f64_e32 v[188:189], s[46:47], v[126:127]
	s_delay_alu instid0(VALU_DEP_4) | instskip(SKIP_2) | instid1(VALU_DEP_3)
	v_add_f64_e32 v[150:151], v[160:161], v[150:151]
	v_add_f64_e32 v[160:161], v[162:163], v[152:153]
	v_fma_f64 v[162:163], v[32:33], s[24:25], v[180:181]
	v_add_f64_e32 v[152:153], v[164:165], v[150:151]
	s_delay_alu instid0(VALU_DEP_3) | instskip(SKIP_2) | instid1(VALU_DEP_2)
	v_add_f64_e32 v[150:151], v[166:167], v[160:161]
	v_fma_f64 v[160:161], v[81:82], s[44:45], v[178:179]
	v_fma_f64 v[164:165], v[36:37], s[30:31], -v[184:185]
	v_add_f64_e32 v[160:161], v[160:161], v[234:235]
	v_mul_f64_e32 v[234:235], s[36:37], v[124:125]
	s_delay_alu instid0(VALU_DEP_2) | instskip(SKIP_1) | instid1(VALU_DEP_1)
	v_add_f64_e32 v[160:161], v[162:163], v[160:161]
	v_fma_f64 v[162:163], v[34:35], s[22:23], -v[182:183]
	v_add_f64_e32 v[162:163], v[162:163], v[232:233]
	v_mul_f64_e32 v[232:233], s[34:35], v[142:143]
	v_mul_f64_e32 v[142:143], s[40:41], v[142:143]
	s_delay_alu instid0(VALU_DEP_3) | instskip(SKIP_1) | instid1(VALU_DEP_1)
	v_add_f64_e32 v[162:163], v[164:165], v[162:163]
	v_fma_f64 v[164:165], v[38:39], s[46:47], v[186:187]
	v_add_f64_e32 v[160:161], v[164:165], v[160:161]
	v_fma_f64 v[164:165], v[20:21], s[42:43], -v[188:189]
	s_delay_alu instid0(VALU_DEP_1) | instskip(SKIP_1) | instid1(VALU_DEP_1)
	v_add_f64_e32 v[162:163], v[164:165], v[162:163]
	v_fma_f64 v[164:165], v[22:23], s[18:19], v[190:191]
	v_add_f64_e32 v[160:161], v[164:165], v[160:161]
	v_fma_f64 v[164:165], v[24:25], s[10:11], -v[192:193]
	s_delay_alu instid0(VALU_DEP_1) | instskip(SKIP_1) | instid1(VALU_DEP_1)
	;; [unrolled: 5-line block ×5, first 2 shown]
	v_add_f64_e32 v[160:161], v[160:161], v[164:165]
	v_fma_f64 v[164:165], v[81:82], s[28:29], v[234:235]
	v_add_f64_e32 v[164:165], v[164:165], v[228:229]
	v_mul_f64_e32 v[228:229], s[6:7], v[128:129]
	v_mul_f64_e32 v[128:129], s[42:43], v[128:129]
	s_delay_alu instid0(VALU_DEP_2) | instskip(NEXT) | instid1(VALU_DEP_1)
	v_fma_f64 v[166:167], v[32:33], s[34:35], v[228:229]
	v_add_f64_e32 v[164:165], v[166:167], v[164:165]
	v_fma_f64 v[166:167], v[38:39], s[18:19], v[236:237]
	s_delay_alu instid0(VALU_DEP_1) | instskip(SKIP_1) | instid1(VALU_DEP_1)
	v_add_f64_e32 v[164:165], v[166:167], v[164:165]
	v_fma_f64 v[166:167], v[34:35], s[36:37], -v[238:239]
	v_add_f64_e32 v[166:167], v[166:167], v[230:231]
	v_mul_f64_e32 v[230:231], s[34:35], v[114:115]
	v_mul_f64_e32 v[114:115], s[38:39], v[114:115]
	s_delay_alu instid0(VALU_DEP_2) | instskip(NEXT) | instid1(VALU_DEP_1)
	v_fma_f64 v[240:241], v[36:37], s[6:7], -v[230:231]
	v_add_f64_e32 v[166:167], v[240:241], v[166:167]
	v_mul_f64_e32 v[240:241], s[18:19], v[126:127]
	s_delay_alu instid0(VALU_DEP_1) | instskip(NEXT) | instid1(VALU_DEP_1)
	v_fma_f64 v[242:243], v[20:21], s[10:11], -v[240:241]
	v_add_f64_e32 v[166:167], v[242:243], v[166:167]
	v_mul_f64_e32 v[242:243], s[22:23], v[136:137]
	v_mul_f64_e32 v[136:137], s[20:21], v[136:137]
	s_delay_alu instid0(VALU_DEP_2) | instskip(NEXT) | instid1(VALU_DEP_1)
	v_fma_f64 v[212:213], v[22:23], s[44:45], v[242:243]
	v_add_f64_e32 v[164:165], v[212:213], v[164:165]
	v_mul_f64_e32 v[212:213], s[44:45], v[130:131]
	v_mul_f64_e32 v[130:131], s[52:53], v[130:131]
	s_delay_alu instid0(VALU_DEP_2) | instskip(NEXT) | instid1(VALU_DEP_1)
	v_fma_f64 v[214:215], v[24:25], s[22:23], -v[212:213]
	v_add_f64_e32 v[166:167], v[214:215], v[166:167]
	v_mul_f64_e32 v[214:215], s[20:21], v[140:141]
	v_mul_f64_e32 v[140:141], s[6:7], v[140:141]
	s_delay_alu instid0(VALU_DEP_2) | instskip(NEXT) | instid1(VALU_DEP_1)
	v_fma_f64 v[216:217], v[26:27], s[52:53], v[214:215]
	v_add_f64_e32 v[164:165], v[216:217], v[164:165]
	v_mul_f64_e32 v[216:217], s[52:53], v[134:135]
	v_mul_f64_e32 v[134:135], s[2:3], v[134:135]
	s_delay_alu instid0(VALU_DEP_2) | instskip(NEXT) | instid1(VALU_DEP_1)
	v_fma_f64 v[204:205], v[16:17], s[20:21], -v[216:217]
	v_add_f64_e32 v[166:167], v[204:205], v[166:167]
	v_mul_f64_e32 v[204:205], s[42:43], v[144:145]
	v_mul_f64_e32 v[144:145], s[22:23], v[144:145]
	s_delay_alu instid0(VALU_DEP_2) | instskip(NEXT) | instid1(VALU_DEP_1)
	v_fma_f64 v[218:219], v[18:19], s[38:39], v[204:205]
	v_add_f64_e32 v[164:165], v[218:219], v[164:165]
	v_mul_f64_e32 v[218:219], s[38:39], v[138:139]
	v_mul_f64_e32 v[138:139], s[44:45], v[138:139]
	s_delay_alu instid0(VALU_DEP_2) | instskip(NEXT) | instid1(VALU_DEP_1)
	v_fma_f64 v[220:221], v[100:101], s[42:43], -v[218:219]
	v_add_f64_e32 v[220:221], v[220:221], v[166:167]
	v_fma_f64 v[166:167], v[102:103], s[14:15], v[64:65]
	v_fma_f64 v[64:65], v[102:103], s[50:51], v[64:65]
	s_delay_alu instid0(VALU_DEP_2) | instskip(SKIP_2) | instid1(VALU_DEP_2)
	v_add_f64_e32 v[166:167], v[166:167], v[164:165]
	v_fma_f64 v[164:165], v[112:113], s[16:17], -v[66:67]
	v_fma_f64 v[66:67], v[112:113], s[16:17], v[66:67]
	v_add_f64_e32 v[164:165], v[164:165], v[220:221]
	v_mul_f64_e32 v[220:221], s[30:31], v[124:125]
	s_delay_alu instid0(VALU_DEP_1) | instskip(SKIP_1) | instid1(VALU_DEP_2)
	v_fma_f64 v[124:125], v[81:82], s[24:25], v[220:221]
	v_fma_f64 v[220:221], v[81:82], s[54:55], v[220:221]
	v_add_f64_e32 v[124:125], v[124:125], v[226:227]
	v_fma_f64 v[226:227], v[34:35], s[30:31], -v[90:91]
	v_fma_f64 v[90:91], v[34:35], s[30:31], v[90:91]
	s_delay_alu instid0(VALU_DEP_2) | instskip(SKIP_2) | instid1(VALU_DEP_2)
	v_add_f64_e32 v[224:225], v[226:227], v[224:225]
	v_fma_f64 v[226:227], v[32:33], s[38:39], v[128:129]
	v_fma_f64 v[128:129], v[32:33], s[46:47], v[128:129]
	v_add_f64_e32 v[124:125], v[226:227], v[124:125]
	v_fma_f64 v[226:227], v[36:37], s[42:43], -v[114:115]
	v_fma_f64 v[114:115], v[36:37], s[42:43], v[114:115]
	s_delay_alu instid0(VALU_DEP_2) | instskip(SKIP_1) | instid1(VALU_DEP_1)
	v_add_f64_e32 v[224:225], v[226:227], v[224:225]
	v_fma_f64 v[226:227], v[38:39], s[48:49], v[132:133]
	v_add_f64_e32 v[124:125], v[226:227], v[124:125]
	v_mul_f64_e32 v[226:227], s[48:49], v[126:127]
	s_delay_alu instid0(VALU_DEP_1) | instskip(NEXT) | instid1(VALU_DEP_1)
	v_fma_f64 v[126:127], v[20:21], s[36:37], -v[226:227]
	v_add_f64_e32 v[126:127], v[126:127], v[224:225]
	v_fma_f64 v[224:225], v[22:23], s[52:53], v[136:137]
	s_delay_alu instid0(VALU_DEP_1) | instskip(SKIP_1) | instid1(VALU_DEP_1)
	v_add_f64_e32 v[124:125], v[224:225], v[124:125]
	v_fma_f64 v[224:225], v[24:25], s[20:21], -v[130:131]
	v_add_f64_e32 v[126:127], v[224:225], v[126:127]
	v_fma_f64 v[224:225], v[26:27], s[2:3], v[140:141]
	s_delay_alu instid0(VALU_DEP_1) | instskip(SKIP_1) | instid1(VALU_DEP_1)
	v_add_f64_e32 v[124:125], v[224:225], v[124:125]
	;; [unrolled: 5-line block ×4, first 2 shown]
	v_fma_f64 v[124:125], v[112:113], s[10:11], -v[142:143]
	v_add_f64_e32 v[124:125], v[124:125], v[224:225]
	scratch_load_b64 v[224:225], off, off offset:72 th:TH_LOAD_LU ; 8-byte Folded Reload
	s_wait_loadcnt 0x0
	v_add_f64_e32 v[220:221], v[220:221], v[224:225]
	scratch_load_b64 v[224:225], off, off offset:64 th:TH_LOAD_LU ; 8-byte Folded Reload
	v_add_f64_e32 v[128:129], v[128:129], v[220:221]
	s_wait_loadcnt 0x0
	v_add_f64_e32 v[90:91], v[90:91], v[224:225]
	s_delay_alu instid0(VALU_DEP_1) | instskip(SKIP_2) | instid1(VALU_DEP_2)
	v_add_f64_e32 v[90:91], v[114:115], v[90:91]
	v_fma_f64 v[114:115], v[38:39], s[28:29], v[132:133]
	v_fma_f64 v[132:133], v[112:113], s[10:11], v[142:143]
	v_add_f64_e32 v[114:115], v[114:115], v[128:129]
	v_fma_f64 v[128:129], v[20:21], s[36:37], v[226:227]
	s_delay_alu instid0(VALU_DEP_1) | instskip(SKIP_1) | instid1(VALU_DEP_1)
	v_add_f64_e32 v[90:91], v[128:129], v[90:91]
	v_fma_f64 v[128:129], v[22:23], s[26:27], v[136:137]
	v_add_f64_e32 v[114:115], v[128:129], v[114:115]
	v_fma_f64 v[128:129], v[24:25], s[20:21], v[130:131]
	s_delay_alu instid0(VALU_DEP_1) | instskip(SKIP_1) | instid1(VALU_DEP_1)
	v_add_f64_e32 v[90:91], v[128:129], v[90:91]
	;; [unrolled: 5-line block ×4, first 2 shown]
	v_fma_f64 v[128:129], v[102:103], s[18:19], v[148:149]
	v_add_f64_e32 v[130:131], v[128:129], v[114:115]
	scratch_load_b64 v[114:115], off, off offset:40 th:TH_LOAD_LU ; 8-byte Folded Reload
	v_add_f64_e32 v[128:129], v[132:133], v[90:91]
	scratch_load_b64 v[132:133], off, off offset:56 th:TH_LOAD_LU ; 8-byte Folded Reload
	v_fma_f64 v[90:91], v[81:82], s[48:49], v[234:235]
	s_wait_loadcnt 0x1
	s_delay_alu instid0(VALU_DEP_1) | instskip(SKIP_2) | instid1(VALU_DEP_1)
	v_add_f64_e32 v[90:91], v[90:91], v[114:115]
	v_fma_f64 v[114:115], v[34:35], s[36:37], v[238:239]
	s_wait_loadcnt 0x0
	v_add_f64_e32 v[114:115], v[114:115], v[132:133]
	v_fma_f64 v[132:133], v[32:33], s[2:3], v[228:229]
	s_delay_alu instid0(VALU_DEP_1) | instskip(SKIP_1) | instid1(VALU_DEP_1)
	v_add_f64_e32 v[90:91], v[132:133], v[90:91]
	v_fma_f64 v[132:133], v[36:37], s[6:7], v[230:231]
	v_add_f64_e32 v[114:115], v[132:133], v[114:115]
	v_fma_f64 v[132:133], v[38:39], s[40:41], v[236:237]
	s_delay_alu instid0(VALU_DEP_1) | instskip(SKIP_1) | instid1(VALU_DEP_1)
	v_add_f64_e32 v[90:91], v[132:133], v[90:91]
	v_fma_f64 v[132:133], v[20:21], s[10:11], v[240:241]
	v_add_f64_e32 v[114:115], v[132:133], v[114:115]
	v_fma_f64 v[132:133], v[22:23], s[12:13], v[242:243]
	s_delay_alu instid0(VALU_DEP_1) | instskip(SKIP_1) | instid1(VALU_DEP_1)
	v_add_f64_e32 v[90:91], v[132:133], v[90:91]
	v_fma_f64 v[132:133], v[24:25], s[22:23], v[212:213]
	v_add_f64_e32 v[114:115], v[132:133], v[114:115]
	v_fma_f64 v[132:133], v[26:27], s[26:27], v[214:215]
	s_delay_alu instid0(VALU_DEP_1) | instskip(SKIP_1) | instid1(VALU_DEP_1)
	v_add_f64_e32 v[90:91], v[132:133], v[90:91]
	v_fma_f64 v[132:133], v[16:17], s[20:21], v[216:217]
	v_add_f64_e32 v[114:115], v[132:133], v[114:115]
	v_fma_f64 v[132:133], v[18:19], s[46:47], v[204:205]
	s_delay_alu instid0(VALU_DEP_1) | instskip(SKIP_1) | instid1(VALU_DEP_2)
	v_add_f64_e32 v[90:91], v[132:133], v[90:91]
	v_fma_f64 v[132:133], v[100:101], s[42:43], v[218:219]
	v_add_f64_e32 v[134:135], v[64:65], v[90:91]
	scratch_load_b64 v[64:65], off, off offset:32 th:TH_LOAD_LU ; 8-byte Folded Reload
	v_add_f64_e32 v[114:115], v[132:133], v[114:115]
	s_delay_alu instid0(VALU_DEP_1)
	v_add_f64_e32 v[132:133], v[66:67], v[114:115]
	s_wait_loadcnt 0x0
	v_add_f64_e32 v[64:65], v[64:65], v[62:63]
	scratch_load_b64 v[62:63], off, off offset:48 th:TH_LOAD_LU ; 8-byte Folded Reload
	s_wait_loadcnt 0x0
	v_add_f64_e32 v[66:67], v[62:63], v[60:61]
	s_delay_alu instid0(VALU_DEP_1) | instskip(NEXT) | instid1(VALU_DEP_1)
	v_add_f64_e32 v[60:61], v[66:67], v[58:59]
	v_add_f64_e32 v[58:59], v[60:61], v[28:29]
	s_delay_alu instid0(VALU_DEP_1) | instskip(NEXT) | instid1(VALU_DEP_1)
	v_add_f64_e32 v[58:59], v[58:59], v[92:93]
	;; [unrolled: 3-line block ×3, first 2 shown]
	v_add_f64_e32 v[58:59], v[58:59], v[30:31]
	s_delay_alu instid0(VALU_DEP_1) | instskip(SKIP_2) | instid1(VALU_DEP_1)
	v_add_f64_e32 v[58:59], v[58:59], v[10:11]
	scratch_load_b64 v[10:11], off, off offset:184 th:TH_LOAD_LU ; 8-byte Folded Reload
	v_add_f64_e32 v[58:59], v[58:59], v[104:105]
	v_add_f64_e32 v[28:29], v[58:59], v[74:75]
	v_mov_b32_e32 v75, v80
	v_add_f64_e32 v[62:63], v[64:65], v[88:89]
	v_mov_b32_e32 v74, v170
	v_mov_b32_e32 v170, v57
	s_delay_alu instid0(VALU_DEP_3) | instskip(NEXT) | instid1(VALU_DEP_1)
	v_add_f64_e32 v[62:63], v[62:63], v[84:85]
	v_add_f64_e32 v[60:61], v[62:63], v[94:95]
	s_delay_alu instid0(VALU_DEP_1) | instskip(NEXT) | instid1(VALU_DEP_1)
	v_add_f64_e32 v[60:61], v[60:61], v[108:109]
	v_add_f64_e32 v[60:61], v[60:61], v[122:123]
	s_delay_alu instid0(VALU_DEP_1) | instskip(SKIP_1) | instid1(VALU_DEP_2)
	v_add_f64_e32 v[60:61], v[60:61], v[46:47]
	v_fma_f64 v[46:47], v[112:113], s[6:7], v[232:233]
	v_add_f64_e32 v[60:61], v[60:61], v[222:223]
	s_wait_loadcnt 0x0
	v_add_f64_e32 v[28:29], v[28:29], v[10:11]
	scratch_load_b64 v[10:11], off, off offset:176 th:TH_LOAD_LU ; 8-byte Folded Reload
	v_add_f64_e32 v[60:61], v[60:61], v[106:107]
	v_add_f64_e32 v[28:29], v[28:29], v[40:41]
	v_fma_f64 v[40:41], v[81:82], s[12:13], v[178:179]
	s_delay_alu instid0(VALU_DEP_3) | instskip(NEXT) | instid1(VALU_DEP_1)
	v_add_f64_e32 v[30:31], v[60:61], v[96:97]
	v_add_f64_e32 v[30:31], v[30:31], v[77:78]
	v_mov_b32_e32 v77, v56
	s_delay_alu instid0(VALU_DEP_2) | instskip(SKIP_3) | instid1(VALU_DEP_3)
	v_add_f64_e32 v[30:31], v[30:31], v[42:43]
	v_fma_f64 v[42:43], v[34:35], s[22:23], v[182:183]
	v_fma_f64 v[34:35], v[34:35], s[6:7], v[146:147]
	s_wait_loadcnt 0x0
	v_add_f64_e32 v[30:31], v[30:31], v[10:11]
	scratch_load_b64 v[10:11], off, off offset:168 th:TH_LOAD_LU ; 8-byte Folded Reload
	v_add_f64_e32 v[30:31], v[30:31], v[120:121]
	s_wait_loadcnt 0x0
	v_add_f64_e32 v[28:29], v[28:29], v[10:11]
	scratch_load_b64 v[10:11], off, off offset:160 th:TH_LOAD_LU ; 8-byte Folded Reload
	v_add_f64_e32 v[28:29], v[28:29], v[44:45]
	v_fma_f64 v[44:45], v[32:33], s[54:55], v[180:181]
	v_fma_f64 v[32:33], v[32:33], s[40:41], v[154:155]
	s_wait_loadcnt 0x0
	v_add_f64_e32 v[30:31], v[30:31], v[10:11]
	scratch_load_b64 v[10:11], off, off offset:152 th:TH_LOAD_LU ; 8-byte Folded Reload
	s_wait_loadcnt 0x0
	v_add_f64_e32 v[28:29], v[28:29], v[10:11]
	scratch_load_b64 v[10:11], off, off offset:24 th:TH_LOAD_LU ; 8-byte Folded Reload
	;; [unrolled: 3-line block ×3, first 2 shown]
	v_add_f64_e32 v[40:41], v[44:45], v[40:41]
	v_fma_f64 v[44:45], v[36:37], s[30:31], v[184:185]
	v_fma_f64 v[36:37], v[36:37], s[10:11], v[206:207]
	s_wait_loadcnt 0x0
	v_add_f64_e32 v[42:43], v[42:43], v[10:11]
	scratch_load_b64 v[10:11], off, off offset:8 th:TH_LOAD_LU ; 8-byte Folded Reload
	v_add_f64_e32 v[42:43], v[44:45], v[42:43]
	v_fma_f64 v[44:45], v[38:39], s[38:39], v[186:187]
	v_fma_f64 v[38:39], v[38:39], s[52:53], v[208:209]
	s_delay_alu instid0(VALU_DEP_2) | instskip(SKIP_2) | instid1(VALU_DEP_2)
	v_add_f64_e32 v[40:41], v[44:45], v[40:41]
	v_fma_f64 v[44:45], v[20:21], s[42:43], v[188:189]
	v_fma_f64 v[20:21], v[20:21], s[20:21], v[210:211]
	v_add_f64_e32 v[42:43], v[44:45], v[42:43]
	v_fma_f64 v[44:45], v[22:23], s[40:41], v[190:191]
	v_fma_f64 v[22:23], v[22:23], s[24:25], v[168:169]
	v_dual_mov_b32 v169, v87 :: v_dual_mov_b32 v168, v86
	s_delay_alu instid0(VALU_DEP_3) | instskip(SKIP_2) | instid1(VALU_DEP_2)
	v_add_f64_e32 v[40:41], v[44:45], v[40:41]
	v_fma_f64 v[44:45], v[24:25], s[10:11], v[192:193]
	v_fma_f64 v[24:25], v[24:25], s[30:31], v[172:173]
	v_add_f64_e32 v[42:43], v[44:45], v[42:43]
	v_fma_f64 v[44:45], v[26:27], s[28:29], v[194:195]
	v_fma_f64 v[26:27], v[26:27], s[50:51], v[52:53]
	s_delay_alu instid0(VALU_DEP_2) | instskip(SKIP_2) | instid1(VALU_DEP_2)
	v_add_f64_e32 v[40:41], v[44:45], v[40:41]
	v_fma_f64 v[44:45], v[16:17], s[36:37], v[196:197]
	v_fma_f64 v[16:17], v[16:17], s[16:17], v[54:55]
	v_add_f64_e32 v[42:43], v[44:45], v[42:43]
	v_fma_f64 v[44:45], v[18:19], s[14:15], v[198:199]
	v_fma_f64 v[18:19], v[18:19], s[28:29], v[8:9]
	s_delay_alu instid0(VALU_DEP_2) | instskip(SKIP_1) | instid1(VALU_DEP_1)
	v_add_f64_e32 v[40:41], v[44:45], v[40:41]
	v_fma_f64 v[44:45], v[100:101], s[16:17], v[200:201]
	v_add_f64_e32 v[44:45], v[44:45], v[42:43]
	v_fma_f64 v[42:43], v[102:103], s[2:3], v[202:203]
	s_delay_alu instid0(VALU_DEP_1) | instskip(NEXT) | instid1(VALU_DEP_3)
	v_add_f64_e32 v[42:43], v[42:43], v[40:41]
	v_add_f64_e32 v[40:41], v[46:47], v[44:45]
	v_fma_f64 v[44:45], v[81:82], s[34:35], v[48:49]
	s_wait_loadcnt 0x0
	s_delay_alu instid0(VALU_DEP_1) | instskip(SKIP_2) | instid1(VALU_DEP_1)
	v_add_f64_e32 v[44:45], v[44:45], v[10:11]
	scratch_load_b64 v[10:11], off, off th:TH_LOAD_LU ; 8-byte Folded Reload
	v_add_f64_e32 v[32:33], v[32:33], v[44:45]
	v_add_f64_e32 v[32:33], v[38:39], v[32:33]
	s_delay_alu instid0(VALU_DEP_1) | instskip(NEXT) | instid1(VALU_DEP_1)
	v_add_f64_e32 v[22:23], v[22:23], v[32:33]
	v_add_f64_e32 v[22:23], v[26:27], v[22:23]
	s_delay_alu instid0(VALU_DEP_1) | instskip(SKIP_3) | instid1(VALU_DEP_1)
	v_add_f64_e32 v[18:19], v[18:19], v[22:23]
	v_fma_f64 v[22:23], v[112:113], s[22:23], v[50:51]
	s_wait_loadcnt 0x0
	v_add_f64_e32 v[34:35], v[34:35], v[10:11]
	v_add_f64_e32 v[34:35], v[36:37], v[34:35]
	s_delay_alu instid0(VALU_DEP_1) | instskip(NEXT) | instid1(VALU_DEP_1)
	v_add_f64_e32 v[20:21], v[20:21], v[34:35]
	v_add_f64_e32 v[20:21], v[24:25], v[20:21]
	v_fma_f64 v[24:25], v[100:101], s[36:37], v[174:175]
	s_delay_alu instid0(VALU_DEP_2) | instskip(SKIP_1) | instid1(VALU_DEP_2)
	v_add_f64_e32 v[16:17], v[16:17], v[20:21]
	v_fma_f64 v[20:21], v[102:103], s[12:13], v[176:177]
	v_add_f64_e32 v[16:17], v[24:25], v[16:17]
	s_delay_alu instid0(VALU_DEP_2) | instskip(SKIP_1) | instid1(VALU_DEP_1)
	v_add_f64_e32 v[18:19], v[20:21], v[18:19]
	v_lshrrev_b32_e32 v20, 1, v68
	v_mul_u32_u24_e32 v20, 34, v20
	s_delay_alu instid0(VALU_DEP_1) | instskip(NEXT) | instid1(VALU_DEP_1)
	v_or_b32_e32 v20, v20, v71
	v_lshlrev_b32_e32 v20, 4, v20
	s_delay_alu instid0(VALU_DEP_1)
	v_add3_u32 v20, 0, v20, v76
	v_add_f64_e32 v[16:17], v[22:23], v[16:17]
	ds_store_b128 v20, v[28:31]
	ds_store_b128 v20, v[244:247] offset:32
	ds_store_b128 v20, v[156:159] offset:64
	;; [unrolled: 1-line block ×16, first 2 shown]
.LBB0_18:
	s_or_b32 exec_lo, exec_lo, s33
	v_lshlrev_b32_e32 v20, 4, v171
	v_lshlrev_b32_e32 v8, 4, v73
	;; [unrolled: 1-line block ×5, first 2 shown]
	v_add3_u32 v78, 0, v20, v76
	v_lshlrev_b32_e32 v20, 4, v77
	v_add3_u32 v67, 0, v8, v76
	v_add3_u32 v66, 0, v9, v76
	;; [unrolled: 1-line block ×3, first 2 shown]
	global_wb scope:SCOPE_SE
	s_wait_storecnt_dscnt 0x0
	v_add3_u32 v80, 0, v20, v76
	s_barrier_signal -1
	s_barrier_wait -1
	global_inv scope:SCOPE_SE
	ds_load_b128 v[8:11], v72
	ds_load_b128 v[36:39], v69 offset:8160
	ds_load_b128 v[16:19], v67
	ds_load_b128 v[12:15], v66
	ds_load_b128 v[44:47], v69 offset:9248
	ds_load_b128 v[40:43], v69 offset:10336
	v_add3_u32 v84, 0, v22, v76
	ds_load_b128 v[28:31], v78
	ds_load_b128 v[20:23], v82
	ds_load_b128 v[56:59], v69 offset:11424
	ds_load_b128 v[48:51], v69 offset:12512
	ds_load_b128 v[32:35], v80
	ds_load_b128 v[24:27], v84
	ds_load_b128 v[60:63], v69 offset:13600
	ds_load_b128 v[52:55], v69 offset:14688
	v_lshlrev_b32_e32 v85, 4, v75
	s_and_saveexec_b32 s1, s0
	s_cbranch_execz .LBB0_20
; %bb.19:
	s_delay_alu instid0(VALU_DEP_1)
	v_add3_u32 v0, 0, v85, v76
	ds_load_b128 v[0:3], v0
	ds_load_b128 v[4:7], v69 offset:15776
.LBB0_20:
	s_wait_alu 0xfffe
	s_or_b32 exec_lo, exec_lo, s1
	v_dual_mov_b32 v65, 0 :: v_dual_and_b32 v64, 0xff, v73
	v_and_b32_e32 v86, 0xff, v83
	v_and_b32_e32 v88, 0xffff, v171
	v_subrev_nc_u32_e32 v87, 34, v68
	s_delay_alu instid0(VALU_DEP_4)
	v_mul_lo_u16 v89, 0xf1, v64
	v_and_b32_e32 v90, 0xffff, v79
	v_and_b32_e32 v91, 0xffff, v77
	v_mul_lo_u16 v93, 0xf1, v86
	v_mul_u32_u24_e32 v88, 0xf0f1, v88
	v_and_b32_e32 v92, 0xffff, v70
	v_lshrrev_b16 v131, 13, v89
	v_cndmask_b32_e64 v64, v87, v68, s0
	v_mul_u32_u24_e32 v87, 0xf0f1, v90
	v_mul_u32_u24_e32 v91, 0xf0f1, v91
	v_lshrrev_b16 v132, 13, v93
	v_lshrrev_b32_e32 v133, 21, v88
	v_mul_lo_u16 v94, v131, 34
	v_mul_u32_u24_e32 v92, 0xf0f1, v92
	v_lshrrev_b32_e32 v134, 21, v87
	v_lshrrev_b32_e32 v135, 21, v91
	v_mul_lo_u16 v91, v132, 34
	v_mul_lo_u16 v97, v133, 34
	v_sub_nc_u16 v93, v73, v94
	v_lshrrev_b32_e32 v136, 21, v92
	v_lshlrev_b64_e32 v[89:90], 4, v[64:65]
	v_mul_lo_u16 v98, v134, 34
	v_sub_nc_u16 v99, v83, v91
	v_mul_lo_u16 v100, v135, 34
	v_sub_nc_u16 v97, v171, v97
	v_and_b32_e32 v92, 0xff, v93
	v_mul_lo_u16 v101, v136, 34
	v_add_co_u32 v89, s1, s4, v89
	v_sub_nc_u16 v98, v79, v98
	v_and_b32_e32 v99, 0xff, v99
	s_wait_alu 0xf1ff
	v_add_co_ci_u32_e64 v90, s1, s5, v90, s1
	v_sub_nc_u16 v100, v77, v100
	v_and_b32_e32 v97, 0xffff, v97
	v_lshlrev_b32_e32 v137, 4, v92
	v_sub_nc_u16 v101, v70, v101
	v_and_b32_e32 v98, 0xffff, v98
	v_lshlrev_b32_e32 v138, 4, v99
	s_clause 0x1
	global_load_b128 v[89:92], v[89:90], off offset:512
	global_load_b128 v[93:96], v137, s[4:5] offset:512
	v_and_b32_e32 v102, 0xffff, v100
	v_lshlrev_b32_e32 v139, 4, v97
	v_and_b32_e32 v105, 0xffff, v101
	v_lshlrev_b32_e32 v140, 4, v98
	global_load_b128 v[97:100], v138, s[4:5] offset:512
	v_lshlrev_b32_e32 v141, 4, v102
	global_load_b128 v[101:104], v139, s[4:5] offset:512
	v_lshlrev_b32_e32 v142, 4, v105
	s_clause 0x2
	global_load_b128 v[105:108], v140, s[4:5] offset:512
	global_load_b128 v[109:112], v141, s[4:5] offset:512
	global_load_b128 v[113:116], v142, s[4:5] offset:512
	v_cmp_lt_u32_e64 s1, 33, v68
	global_wb scope:SCOPE_SE
	s_wait_loadcnt_dscnt 0x0
	s_barrier_signal -1
	s_barrier_wait -1
	global_inv scope:SCOPE_SE
	v_mul_f64_e32 v[117:118], v[38:39], v[91:92]
	v_mul_f64_e32 v[91:92], v[36:37], v[91:92]
	;; [unrolled: 1-line block ×14, first 2 shown]
	v_fma_f64 v[36:37], v[36:37], v[89:90], -v[117:118]
	v_fma_f64 v[38:39], v[38:39], v[89:90], v[91:92]
	v_fma_f64 v[44:45], v[44:45], v[93:94], -v[119:120]
	v_fma_f64 v[46:47], v[46:47], v[93:94], v[95:96]
	;; [unrolled: 2-line block ×7, first 2 shown]
	v_add_f64_e64 v[36:37], v[8:9], -v[36:37]
	v_add_f64_e64 v[38:39], v[10:11], -v[38:39]
	;; [unrolled: 1-line block ×14, first 2 shown]
	s_wait_alu 0xf1ff
	v_cndmask_b32_e64 v93, 0, 0x440, s1
	v_mad_u32_u24 v94, 0x440, v135, 0
	v_mad_u32_u24 v95, 0x440, v136, 0
	s_delay_alu instid0(VALU_DEP_2) | instskip(NEXT) | instid1(VALU_DEP_2)
	v_add3_u32 v94, v94, v141, v76
	v_add3_u32 v95, v95, v142, v76
	v_fma_f64 v[89:90], v[8:9], 2.0, -v[36:37]
	v_fma_f64 v[91:92], v[10:11], 2.0, -v[38:39]
	;; [unrolled: 1-line block ×4, first 2 shown]
	v_lshlrev_b32_e32 v8, 1, v68
	v_fma_f64 v[9:10], v[12:13], 2.0, -v[44:45]
	v_fma_f64 v[11:12], v[14:15], 2.0, -v[46:47]
	;; [unrolled: 1-line block ×10, first 2 shown]
	v_add_nc_u32_e32 v13, 0, v93
	v_lshlrev_b32_e32 v14, 4, v64
	v_and_b32_e32 v15, 0xffff, v132
	v_mad_u32_u24 v64, 0x440, v133, 0
	v_mad_u32_u24 v93, 0x440, v134, 0
	s_delay_alu instid0(VALU_DEP_4) | instskip(SKIP_4) | instid1(VALU_DEP_4)
	v_add3_u32 v13, v13, v14, v76
	v_and_b32_e32 v14, 0xffff, v131
	v_mad_u32_u24 v15, 0x440, v15, 0
	v_add3_u32 v64, v64, v139, v76
	v_add3_u32 v93, v93, v140, v76
	v_mad_u32_u24 v14, 0x440, v14, 0
	s_delay_alu instid0(VALU_DEP_4) | instskip(NEXT) | instid1(VALU_DEP_2)
	v_add3_u32 v15, v15, v138, v76
	v_add3_u32 v14, v14, v137, v76
	ds_store_b128 v13, v[89:92]
	ds_store_b128 v13, v[36:39] offset:544
	ds_store_b128 v14, v[16:19]
	ds_store_b128 v14, v[40:43] offset:544
	;; [unrolled: 2-line block ×7, first 2 shown]
	s_and_saveexec_b32 s1, s0
	s_cbranch_execz .LBB0_22
; %bb.21:
	v_and_b32_e32 v9, 0xffff, v75
	s_delay_alu instid0(VALU_DEP_1) | instskip(NEXT) | instid1(VALU_DEP_1)
	v_mul_u32_u24_e32 v9, 0xf0f1, v9
	v_lshrrev_b32_e32 v9, 21, v9
	s_delay_alu instid0(VALU_DEP_1) | instskip(NEXT) | instid1(VALU_DEP_1)
	v_mul_lo_u16 v9, v9, 34
	v_sub_nc_u16 v9, v75, v9
	s_delay_alu instid0(VALU_DEP_1) | instskip(NEXT) | instid1(VALU_DEP_1)
	v_and_b32_e32 v9, 0xffff, v9
	v_lshlrev_b32_e32 v15, 4, v9
	global_load_b128 v[9:12], v15, s[4:5] offset:512
	s_wait_loadcnt 0x0
	v_mul_f64_e32 v[13:14], v[4:5], v[11:12]
	v_mul_f64_e32 v[11:12], v[6:7], v[11:12]
	s_delay_alu instid0(VALU_DEP_2) | instskip(NEXT) | instid1(VALU_DEP_2)
	v_fma_f64 v[6:7], v[6:7], v[9:10], v[13:14]
	v_fma_f64 v[4:5], v[4:5], v[9:10], -v[11:12]
	v_add3_u32 v9, 0, v15, v76
	s_delay_alu instid0(VALU_DEP_3) | instskip(NEXT) | instid1(VALU_DEP_3)
	v_add_f64_e64 v[6:7], v[2:3], -v[6:7]
	v_add_f64_e64 v[4:5], v[0:1], -v[4:5]
	s_delay_alu instid0(VALU_DEP_2) | instskip(NEXT) | instid1(VALU_DEP_2)
	v_fma_f64 v[2:3], v[2:3], 2.0, -v[6:7]
	v_fma_f64 v[0:1], v[0:1], 2.0, -v[4:5]
	ds_store_b128 v9, v[0:3] offset:15232
	ds_store_b128 v9, v[4:7] offset:15776
.LBB0_22:
	s_wait_alu 0xfffe
	s_or_b32 exec_lo, exec_lo, s1
	v_lshrrev_b32_e32 v0, 22, v88
	v_mov_b32_e32 v9, v65
	v_mul_lo_u16 v2, 0x79, v86
	v_lshrrev_b32_e32 v4, 22, v87
	global_wb scope:SCOPE_SE
	s_wait_dscnt 0x0
	v_mul_lo_u16 v3, 0x44, v0
	v_lshlrev_b64_e32 v[0:1], 4, v[8:9]
	v_lshrrev_b16 v5, 13, v2
	v_mul_lo_u16 v4, 0x44, v4
	s_barrier_signal -1
	v_sub_nc_u16 v6, v171, v3
	s_barrier_wait -1
	v_add_co_u32 v2, s1, s4, v0
	v_mul_lo_u16 v0, 0x44, v5
	s_wait_alu 0xf1ff
	v_add_co_ci_u32_e64 v3, s1, s5, v1, s1
	v_sub_nc_u16 v12, v79, v4
	v_and_b32_e32 v1, 0xffff, v6
	v_sub_nc_u16 v0, v83, v0
	global_inv scope:SCOPE_SE
	s_clause 0x1
	global_load_b128 v[4:7], v[2:3], off offset:1072
	global_load_b128 v[8:11], v[2:3], off offset:1056
	v_and_b32_e32 v3, 0xffff, v12
	v_lshlrev_b32_e32 v16, 5, v1
	v_and_b32_e32 v2, 0xff, v0
	s_clause 0x1
	global_load_b128 v[12:15], v16, s[4:5] offset:1056
	global_load_b128 v[16:19], v16, s[4:5] offset:1072
	v_lshlrev_b32_e32 v0, 5, v3
	v_lshlrev_b32_e32 v32, 5, v2
	s_clause 0x3
	global_load_b128 v[20:23], v0, s[4:5] offset:1056
	global_load_b128 v[24:27], v0, s[4:5] offset:1072
	;; [unrolled: 1-line block ×4, first 2 shown]
	ds_load_b128 v[36:39], v80
	ds_load_b128 v[40:43], v69 offset:10880
	ds_load_b128 v[44:47], v84
	ds_load_b128 v[48:51], v69 offset:11968
	ds_load_b128 v[52:55], v69 offset:8704
	;; [unrolled: 1-line block ×3, first 2 shown]
	v_add3_u32 v0, 0, v85, v76
	ds_load_b128 v[60:63], v69 offset:9792
	ds_load_b128 v[85:88], v69 offset:15232
	ds_load_b128 v[89:92], v0
	ds_load_b128 v[93:96], v69 offset:13056
	s_mov_b32 s2, 0xe8584caa
	s_mov_b32 s3, 0x3febb67a
	;; [unrolled: 1-line block ×3, first 2 shown]
	s_wait_alu 0xfffe
	s_mov_b32 s6, s2
	v_lshlrev_b32_e32 v64, 2, v68
	v_lshlrev_b32_e32 v1, 4, v1
	;; [unrolled: 1-line block ×4, first 2 shown]
	s_mov_b32 s10, 0x134454ff
	s_mov_b32 s11, 0x3fee6f0e
	v_add3_u32 v1, 0, v1, v76
	v_add3_u32 v3, 0, v3, v76
	;; [unrolled: 1-line block ×3, first 2 shown]
	s_mov_b32 s13, 0xbfee6f0e
	s_wait_alu 0xfffe
	s_mov_b32 s12, s10
	s_wait_loadcnt_dscnt 0x708
	v_mul_f64_e32 v[101:102], v[42:43], v[6:7]
	s_wait_loadcnt 0x6
	v_mul_f64_e32 v[97:98], v[38:39], v[10:11]
	v_mul_f64_e32 v[99:100], v[36:37], v[10:11]
	;; [unrolled: 1-line block ×3, first 2 shown]
	s_wait_dscnt 0x7
	v_mul_f64_e32 v[105:106], v[46:47], v[10:11]
	v_mul_f64_e32 v[10:11], v[44:45], v[10:11]
	s_wait_dscnt 0x6
	v_mul_f64_e32 v[107:108], v[50:51], v[6:7]
	v_mul_f64_e32 v[6:7], v[48:49], v[6:7]
	s_wait_loadcnt_dscnt 0x505
	v_mul_f64_e32 v[109:110], v[54:55], v[14:15]
	v_mul_f64_e32 v[14:15], v[52:53], v[14:15]
	s_wait_loadcnt_dscnt 0x404
	;; [unrolled: 3-line block ×3, first 2 shown]
	v_mul_f64_e32 v[113:114], v[62:63], v[22:23]
	s_wait_loadcnt_dscnt 0x202
	v_mul_f64_e32 v[115:116], v[87:88], v[26:27]
	v_mul_f64_e32 v[22:23], v[60:61], v[22:23]
	;; [unrolled: 1-line block ×3, first 2 shown]
	s_wait_loadcnt_dscnt 0x101
	v_mul_f64_e32 v[117:118], v[91:92], v[30:31]
	s_wait_loadcnt_dscnt 0x0
	v_mul_f64_e32 v[119:120], v[95:96], v[34:35]
	v_mul_f64_e32 v[30:31], v[89:90], v[30:31]
	;; [unrolled: 1-line block ×3, first 2 shown]
	v_fma_f64 v[40:41], v[40:41], v[4:5], -v[101:102]
	v_fma_f64 v[36:37], v[36:37], v[8:9], -v[97:98]
	v_fma_f64 v[38:39], v[38:39], v[8:9], v[99:100]
	v_fma_f64 v[42:43], v[42:43], v[4:5], v[103:104]
	v_fma_f64 v[44:45], v[44:45], v[8:9], -v[105:106]
	v_fma_f64 v[46:47], v[46:47], v[8:9], v[10:11]
	v_fma_f64 v[48:49], v[48:49], v[4:5], -v[107:108]
	;; [unrolled: 2-line block ×5, first 2 shown]
	v_fma_f64 v[60:61], v[85:86], v[24:25], -v[115:116]
	v_fma_f64 v[62:63], v[62:63], v[20:21], v[22:23]
	v_fma_f64 v[24:25], v[87:88], v[24:25], v[26:27]
	v_fma_f64 v[26:27], v[89:90], v[28:29], -v[117:118]
	v_fma_f64 v[85:86], v[93:94], v[32:33], -v[119:120]
	v_fma_f64 v[28:29], v[91:92], v[28:29], v[30:31]
	v_fma_f64 v[30:31], v[95:96], v[32:33], v[34:35]
	ds_load_b128 v[4:7], v72
	ds_load_b128 v[8:11], v67
	;; [unrolled: 1-line block ×5, first 2 shown]
	global_wb scope:SCOPE_SE
	s_wait_dscnt 0x0
	s_barrier_signal -1
	s_barrier_wait -1
	global_inv scope:SCOPE_SE
	v_add_f64_e32 v[32:33], v[36:37], v[40:41]
	v_add_f64_e32 v[105:106], v[4:5], v[36:37]
	;; [unrolled: 1-line block ×3, first 2 shown]
	v_add_f64_e64 v[107:108], v[38:39], -v[42:43]
	v_add_f64_e32 v[38:39], v[6:7], v[38:39]
	v_add_f64_e32 v[87:88], v[44:45], v[48:49]
	;; [unrolled: 1-line block ×3, first 2 shown]
	v_add_f64_e64 v[36:37], v[36:37], -v[40:41]
	v_add_f64_e32 v[109:110], v[8:9], v[44:45]
	v_add_f64_e32 v[91:92], v[52:53], v[56:57]
	;; [unrolled: 1-line block ×7, first 2 shown]
	v_add_f64_e64 v[46:47], v[46:47], -v[50:51]
	v_add_f64_e32 v[101:102], v[26:27], v[85:86]
	v_add_f64_e32 v[121:122], v[22:23], v[28:29]
	;; [unrolled: 1-line block ×3, first 2 shown]
	v_add_f64_e64 v[44:45], v[44:45], -v[48:49]
	v_add_f64_e32 v[113:114], v[12:13], v[52:53]
	v_add_f64_e64 v[123:124], v[54:55], -v[97:98]
	v_add_f64_e64 v[52:53], v[52:53], -v[56:57]
	v_add_f64_e32 v[115:116], v[16:17], v[58:59]
	v_add_f64_e64 v[62:63], v[62:63], -v[24:25]
	v_add_f64_e64 v[58:59], v[58:59], -v[60:61]
	v_add_f64_e32 v[119:120], v[20:21], v[26:27]
	v_add_f64_e64 v[125:126], v[28:29], -v[30:31]
	v_add_f64_e64 v[127:128], v[26:27], -v[85:86]
	v_fma_f64 v[32:33], v[32:33], -0.5, v[4:5]
	v_add_f64_e32 v[4:5], v[105:106], v[40:41]
	v_fma_f64 v[34:35], v[34:35], -0.5, v[6:7]
	v_add_f64_e32 v[6:7], v[38:39], v[42:43]
	v_fma_f64 v[87:88], v[87:88], -0.5, v[8:9]
	v_fma_f64 v[89:90], v[89:90], -0.5, v[10:11]
	v_add_f64_e32 v[8:9], v[109:110], v[48:49]
	v_fma_f64 v[91:92], v[91:92], -0.5, v[12:13]
	;; [unrolled: 3-line block ×3, first 2 shown]
	v_add_f64_e32 v[10:11], v[111:112], v[50:51]
	v_fma_f64 v[99:100], v[99:100], -0.5, v[18:19]
	v_add_f64_e32 v[18:19], v[117:118], v[24:25]
	v_fma_f64 v[101:102], v[101:102], -0.5, v[20:21]
	v_fma_f64 v[103:104], v[103:104], -0.5, v[22:23]
	v_add_f64_e32 v[22:23], v[121:122], v[30:31]
	v_add_f64_e32 v[12:13], v[113:114], v[56:57]
	;; [unrolled: 1-line block ×4, first 2 shown]
	v_lshlrev_b64_e32 v[85:86], 4, v[64:65]
	v_lshlrev_b32_e32 v64, 2, v73
	s_delay_alu instid0(VALU_DEP_2) | instskip(SKIP_1) | instid1(VALU_DEP_3)
	v_add_co_u32 v85, s1, s4, v85
	s_wait_alu 0xf1ff
	v_add_co_ci_u32_e64 v86, s1, s5, v86, s1
	v_fma_f64 v[24:25], v[107:108], s[2:3], v[32:33]
	v_fma_f64 v[28:29], v[107:108], s[6:7], v[32:33]
	;; [unrolled: 1-line block ×20, first 2 shown]
	v_add_f64_e32 v[14:15], v[14:15], v[97:98]
	v_lshlrev_b64_e32 v[87:88], 4, v[64:65]
	v_lshlrev_b32_e32 v64, 2, v83
	s_mov_b32 s2, 0x4755a5e
	s_mov_b32 s3, 0x3fe2cf23
	;; [unrolled: 1-line block ×3, first 2 shown]
	s_wait_alu 0xfffe
	s_mov_b32 s6, s2
	ds_store_b128 v69, v[4:7]
	ds_store_b128 v69, v[24:27] offset:1088
	ds_store_b128 v69, v[28:31] offset:2176
	;; [unrolled: 1-line block ×14, first 2 shown]
	v_add_co_u32 v29, s1, s4, v87
	v_lshlrev_b64_e32 v[31:32], 4, v[64:65]
	s_wait_alu 0xf1ff
	v_add_co_ci_u32_e64 v30, s1, s5, v88, s1
	global_wb scope:SCOPE_SE
	s_wait_dscnt 0x0
	s_barrier_signal -1
	s_barrier_wait -1
	global_inv scope:SCOPE_SE
	s_clause 0x6
	global_load_b128 v[1:4], v[85:86], off offset:3232
	global_load_b128 v[5:8], v[85:86], off offset:3248
	;; [unrolled: 1-line block ×7, first 2 shown]
	v_add_co_u32 v45, s1, s4, v31
	s_wait_alu 0xf1ff
	v_add_co_ci_u32_e64 v46, s1, s5, v32, s1
	s_clause 0x4
	global_load_b128 v[29:32], v[29:30], off offset:3280
	global_load_b128 v[33:36], v[45:46], off offset:3232
	;; [unrolled: 1-line block ×5, first 2 shown]
	ds_load_b128 v[49:52], v78
	ds_load_b128 v[53:56], v84
	ds_load_b128 v[57:60], v69 offset:9792
	ds_load_b128 v[61:64], v69 offset:13056
	ds_load_b128 v[84:87], v82
	ds_load_b128 v[88:91], v0
	ds_load_b128 v[92:95], v69 offset:10880
	ds_load_b128 v[96:99], v69 offset:14144
	ds_load_b128 v[100:103], v80
	ds_load_b128 v[104:107], v69 offset:8704
	ds_load_b128 v[108:111], v69 offset:11968
	;; [unrolled: 1-line block ×3, first 2 shown]
	s_wait_loadcnt_dscnt 0x808
	v_mul_f64_e32 v[122:123], v[63:64], v[15:16]
	v_mul_f64_e32 v[118:119], v[55:56], v[7:8]
	;; [unrolled: 1-line block ×8, first 2 shown]
	s_wait_loadcnt_dscnt 0x507
	v_mul_f64_e32 v[124:125], v[86:87], v[27:28]
	s_wait_dscnt 0x6
	v_mul_f64_e32 v[126:127], v[90:91], v[23:24]
	s_wait_dscnt 0x5
	v_mul_f64_e32 v[128:129], v[94:95], v[19:20]
	v_mul_f64_e32 v[23:24], v[88:89], v[23:24]
	;; [unrolled: 1-line block ×4, first 2 shown]
	s_wait_loadcnt_dscnt 0x404
	v_mul_f64_e32 v[130:131], v[98:99], v[31:32]
	v_mul_f64_e32 v[31:32], v[96:97], v[31:32]
	s_wait_loadcnt_dscnt 0x202
	v_mul_f64_e32 v[134:135], v[106:107], v[39:40]
	s_wait_loadcnt_dscnt 0x101
	v_mul_f64_e32 v[136:137], v[110:111], v[43:44]
	v_mul_f64_e32 v[39:40], v[104:105], v[39:40]
	v_mul_f64_e32 v[43:44], v[108:109], v[43:44]
	v_mul_f64_e32 v[132:133], v[102:103], v[35:36]
	v_mul_f64_e32 v[35:36], v[100:101], v[35:36]
	s_wait_loadcnt_dscnt 0x0
	v_mul_f64_e32 v[138:139], v[114:115], v[47:48]
	v_mul_f64_e32 v[47:48], v[112:113], v[47:48]
	v_fma_f64 v[61:62], v[61:62], v[13:14], -v[122:123]
	v_fma_f64 v[53:54], v[53:54], v[5:6], -v[118:119]
	;; [unrolled: 1-line block ×3, first 2 shown]
	v_fma_f64 v[55:56], v[55:56], v[5:6], v[7:8]
	v_fma_f64 v[13:14], v[63:64], v[13:14], v[15:16]
	;; [unrolled: 1-line block ×3, first 2 shown]
	v_fma_f64 v[49:50], v[49:50], v[1:2], -v[116:117]
	v_fma_f64 v[51:52], v[51:52], v[1:2], v[3:4]
	v_fma_f64 v[59:60], v[84:85], v[25:26], -v[124:125]
	v_fma_f64 v[63:64], v[88:89], v[21:22], -v[126:127]
	;; [unrolled: 1-line block ×3, first 2 shown]
	v_fma_f64 v[21:22], v[90:91], v[21:22], v[23:24]
	v_fma_f64 v[17:18], v[94:95], v[17:18], v[19:20]
	;; [unrolled: 1-line block ×3, first 2 shown]
	v_fma_f64 v[27:28], v[96:97], v[29:30], -v[130:131]
	v_fma_f64 v[19:20], v[98:99], v[29:30], v[31:32]
	v_fma_f64 v[29:30], v[104:105], v[37:38], -v[134:135]
	v_fma_f64 v[31:32], v[108:109], v[41:42], -v[136:137]
	v_fma_f64 v[37:38], v[106:107], v[37:38], v[39:40]
	v_fma_f64 v[39:40], v[110:111], v[41:42], v[43:44]
	v_fma_f64 v[23:24], v[100:101], v[33:34], -v[132:133]
	v_fma_f64 v[33:34], v[102:103], v[33:34], v[35:36]
	v_fma_f64 v[35:36], v[112:113], v[45:46], -v[138:139]
	v_fma_f64 v[41:42], v[114:115], v[45:46], v[47:48]
	ds_load_b128 v[0:3], v72
	ds_load_b128 v[4:7], v67
	;; [unrolled: 1-line block ×3, first 2 shown]
	global_wb scope:SCOPE_SE
	s_wait_dscnt 0x0
	s_barrier_signal -1
	s_barrier_wait -1
	global_inv scope:SCOPE_SE
	v_add_f64_e32 v[43:44], v[53:54], v[57:58]
	v_add_f64_e64 v[98:99], v[61:62], -v[57:58]
	v_add_f64_e64 v[106:107], v[57:58], -v[61:62]
	v_add_f64_e32 v[88:89], v[55:56], v[15:16]
	v_add_f64_e32 v[47:48], v[49:50], v[61:62]
	v_add_f64_e32 v[92:93], v[51:52], v[13:14]
	v_add_f64_e32 v[45:46], v[0:1], v[49:50]
	v_add_f64_e32 v[110:111], v[2:3], v[51:52]
	v_add_f64_e32 v[96:97], v[63:64], v[84:85]
	v_add_f64_e64 v[86:87], v[51:52], -v[13:14]
	v_add_f64_e32 v[104:105], v[21:22], v[17:18]
	v_add_f64_e64 v[94:95], v[49:50], -v[53:54]
	v_add_f64_e32 v[100:101], v[59:60], v[27:28]
	v_add_f64_e32 v[108:109], v[25:26], v[19:20]
	v_add_f64_e64 v[102:103], v[53:54], -v[49:50]
	v_add_f64_e32 v[112:113], v[29:30], v[31:32]
	v_add_f64_e64 v[49:50], v[49:50], -v[61:62]
	v_add_f64_e32 v[118:119], v[37:38], v[39:40]
	v_add_f64_e32 v[142:143], v[6:7], v[25:26]
	;; [unrolled: 1-line block ×5, first 2 shown]
	v_add_f64_e64 v[90:91], v[55:56], -v[15:16]
	v_add_f64_e64 v[116:117], v[53:54], -v[57:58]
	;; [unrolled: 1-line block ×4, first 2 shown]
	v_add_f64_e32 v[148:149], v[10:11], v[33:34]
	v_add_f64_e32 v[128:129], v[4:5], v[59:60]
	v_add_f64_e64 v[130:131], v[25:26], -v[19:20]
	v_add_f64_e64 v[134:135], v[59:60], -v[63:64]
	v_add_f64_e64 v[138:139], v[63:64], -v[59:60]
	v_add_f64_e64 v[59:60], v[59:60], -v[27:28]
	v_add_f64_e64 v[51:52], v[55:56], -v[51:52]
	v_add_f64_e64 v[126:127], v[15:16], -v[13:14]
	v_add_f64_e64 v[132:133], v[21:22], -v[17:18]
	v_add_f64_e64 v[144:145], v[63:64], -v[84:85]
	v_add_f64_e64 v[152:153], v[33:34], -v[41:42]
	v_add_f64_e64 v[156:157], v[23:24], -v[35:36]
	v_fma_f64 v[43:44], v[43:44], -0.5, v[0:1]
	v_add_f64_e64 v[154:155], v[23:24], -v[29:30]
	v_add_f64_e64 v[23:24], v[29:30], -v[23:24]
	v_fma_f64 v[88:89], v[88:89], -0.5, v[2:3]
	v_fma_f64 v[0:1], v[47:48], -0.5, v[0:1]
	;; [unrolled: 1-line block ×3, first 2 shown]
	v_add_f64_e32 v[45:46], v[45:46], v[53:54]
	v_add_f64_e32 v[55:56], v[110:111], v[55:56]
	v_fma_f64 v[96:97], v[96:97], -0.5, v[4:5]
	v_add_f64_e64 v[136:137], v[27:28], -v[84:85]
	v_fma_f64 v[104:105], v[104:105], -0.5, v[6:7]
	v_add_f64_e64 v[140:141], v[84:85], -v[27:28]
	v_fma_f64 v[4:5], v[100:101], -0.5, v[4:5]
	v_fma_f64 v[6:7], v[108:109], -0.5, v[6:7]
	v_add_f64_e64 v[100:101], v[37:38], -v[39:40]
	v_fma_f64 v[112:113], v[112:113], -0.5, v[8:9]
	v_add_f64_e64 v[150:151], v[25:26], -v[21:22]
	;; [unrolled: 2-line block ×3, first 2 shown]
	v_add_f64_e64 v[158:159], v[33:34], -v[37:38]
	v_fma_f64 v[8:9], v[114:115], -0.5, v[8:9]
	v_add_f64_e64 v[114:115], v[29:30], -v[31:32]
	v_fma_f64 v[10:11], v[120:121], -0.5, v[10:11]
	v_add_f64_e64 v[120:121], v[31:32], -v[35:36]
	v_add_f64_e64 v[33:34], v[37:38], -v[33:34]
	;; [unrolled: 1-line block ×3, first 2 shown]
	v_add_f64_e32 v[53:54], v[94:95], v[98:99]
	v_add_f64_e32 v[94:95], v[102:103], v[106:107]
	;; [unrolled: 1-line block ×6, first 2 shown]
	v_add_f64_e64 v[92:93], v[17:18], -v[19:20]
	v_add_f64_e32 v[63:64], v[128:129], v[63:64]
	v_add_f64_e64 v[47:48], v[19:20], -v[17:18]
	v_add_f64_e32 v[51:52], v[51:52], v[126:127]
	v_add_f64_e64 v[108:109], v[35:36], -v[31:32]
	v_add_f64_e64 v[160:161], v[41:42], -v[39:40]
	v_fma_f64 v[102:103], v[86:87], s[10:11], v[43:44]
	v_fma_f64 v[43:44], v[86:87], s[12:13], v[43:44]
	;; [unrolled: 1-line block ×24, first 2 shown]
	v_add_f64_e32 v[120:121], v[23:24], v[120:121]
	v_add_f64_e32 v[23:24], v[45:46], v[57:58]
	;; [unrolled: 1-line block ×13, first 2 shown]
	v_fma_f64 v[31:32], v[90:91], s[2:3], v[102:103]
	s_wait_alu 0xfffe
	v_fma_f64 v[33:34], v[90:91], s[6:7], v[43:44]
	v_add_f64_e32 v[138:139], v[158:159], v[160:161]
	v_fma_f64 v[43:44], v[116:117], s[6:7], v[110:111]
	v_fma_f64 v[37:38], v[86:87], s[2:3], v[106:107]
	;; [unrolled: 1-line block ×22, first 2 shown]
	s_mov_b32 s2, 0x372fe950
	s_mov_b32 s3, 0x3fd3c6ef
	v_add_f64_e32 v[0:1], v[23:24], v[61:62]
	v_add_f64_e32 v[2:3], v[15:16], v[13:14]
	;; [unrolled: 1-line block ×6, first 2 shown]
	s_wait_alu 0xfffe
	v_fma_f64 v[12:13], v[53:54], s[2:3], v[31:32]
	v_fma_f64 v[16:17], v[53:54], s[2:3], v[33:34]
	v_fma_f64 v[14:15], v[98:99], s[2:3], v[43:44]
	v_fma_f64 v[20:21], v[94:95], s[2:3], v[37:38]
	v_fma_f64 v[22:23], v[51:52], s[2:3], v[55:56]
	v_fma_f64 v[24:25], v[94:95], s[2:3], v[39:40]
	v_fma_f64 v[26:27], v[51:52], s[2:3], v[49:50]
	v_fma_f64 v[18:19], v[98:99], s[2:3], v[45:46]
	v_fma_f64 v[28:29], v[134:135], s[2:3], v[57:58]
	v_fma_f64 v[30:31], v[47:48], s[2:3], v[88:89]
	v_fma_f64 v[32:33], v[134:135], s[2:3], v[63:64]
	v_fma_f64 v[36:37], v[136:137], s[2:3], v[84:85]
	v_fma_f64 v[38:39], v[92:93], s[2:3], v[96:97]
	v_fma_f64 v[40:41], v[136:137], s[2:3], v[86:87]
	v_fma_f64 v[42:43], v[92:93], s[2:3], v[59:60]
	v_fma_f64 v[34:35], v[47:48], s[2:3], v[90:91]
	v_fma_f64 v[44:45], v[108:109], s[2:3], v[102:103]
	v_fma_f64 v[46:47], v[138:139], s[2:3], v[110:111]
	v_fma_f64 v[48:49], v[108:109], s[2:3], v[100:101]
	v_fma_f64 v[52:53], v[120:121], s[2:3], v[104:105]
	v_fma_f64 v[56:57], v[120:121], s[2:3], v[106:107]
	v_fma_f64 v[54:55], v[140:141], s[2:3], v[112:113]
	v_fma_f64 v[58:59], v[140:141], s[2:3], v[116:117]
	v_fma_f64 v[50:51], v[138:139], s[2:3], v[114:115]
	ds_store_b128 v69, v[0:3]
	ds_store_b128 v69, v[12:15] offset:3264
	ds_store_b128 v69, v[20:23] offset:6528
	ds_store_b128 v69, v[24:27] offset:9792
	ds_store_b128 v69, v[16:19] offset:13056
	ds_store_b128 v67, v[4:7]
	ds_store_b128 v67, v[28:31] offset:3264
	ds_store_b128 v67, v[36:39] offset:6528
	ds_store_b128 v67, v[40:43] offset:9792
	ds_store_b128 v67, v[32:35] offset:13056
	;; [unrolled: 5-line block ×3, first 2 shown]
	global_wb scope:SCOPE_SE
	s_wait_dscnt 0x0
	s_barrier_signal -1
	s_barrier_wait -1
	global_inv scope:SCOPE_SE
	ds_load_b128 v[4:7], v72
	v_sub_nc_u32_e32 v10, v170, v74
	s_mov_b32 s2, exec_lo
                                        ; implicit-def: $vgpr2_vgpr3
                                        ; implicit-def: $vgpr8_vgpr9
	v_cmpx_ne_u32_e32 0, v68
	s_wait_alu 0xfffe
	s_xor_b32 s2, exec_lo, s2
	s_cbranch_execz .LBB0_24
; %bb.23:
	v_mov_b32_e32 v69, 0
	s_delay_alu instid0(VALU_DEP_1) | instskip(NEXT) | instid1(VALU_DEP_1)
	v_lshlrev_b64_e32 v[0:1], 4, v[68:69]
	v_add_co_u32 v0, s1, s4, v0
	s_wait_alu 0xf1ff
	s_delay_alu instid0(VALU_DEP_2)
	v_add_co_ci_u32_e64 v1, s1, s5, v1, s1
	global_load_b128 v[11:14], v[0:1], off offset:16288
	ds_load_b128 v[0:3], v10 offset:16320
	s_wait_dscnt 0x0
	v_add_f64_e64 v[8:9], v[4:5], -v[0:1]
	v_add_f64_e32 v[15:16], v[6:7], v[2:3]
	v_add_f64_e64 v[2:3], v[6:7], -v[2:3]
	v_add_f64_e32 v[0:1], v[4:5], v[0:1]
	s_delay_alu instid0(VALU_DEP_4) | instskip(NEXT) | instid1(VALU_DEP_4)
	v_mul_f64_e32 v[6:7], 0.5, v[8:9]
	v_mul_f64_e32 v[4:5], 0.5, v[15:16]
	s_delay_alu instid0(VALU_DEP_4) | instskip(SKIP_1) | instid1(VALU_DEP_3)
	v_mul_f64_e32 v[2:3], 0.5, v[2:3]
	s_wait_loadcnt 0x0
	v_mul_f64_e32 v[8:9], v[6:7], v[13:14]
	s_delay_alu instid0(VALU_DEP_2) | instskip(SKIP_1) | instid1(VALU_DEP_3)
	v_fma_f64 v[15:16], v[4:5], v[13:14], v[2:3]
	v_fma_f64 v[2:3], v[4:5], v[13:14], -v[2:3]
	v_fma_f64 v[17:18], v[0:1], 0.5, v[8:9]
	v_fma_f64 v[0:1], v[0:1], 0.5, -v[8:9]
	s_delay_alu instid0(VALU_DEP_4) | instskip(NEXT) | instid1(VALU_DEP_4)
	v_fma_f64 v[8:9], -v[11:12], v[6:7], v[15:16]
	v_fma_f64 v[2:3], -v[11:12], v[6:7], v[2:3]
	s_delay_alu instid0(VALU_DEP_4) | instskip(NEXT) | instid1(VALU_DEP_4)
	v_fma_f64 v[13:14], v[4:5], v[11:12], v[17:18]
	v_fma_f64 v[0:1], -v[4:5], v[11:12], v[0:1]
                                        ; implicit-def: $vgpr4_vgpr5
	ds_store_b64 v72, v[13:14]
.LBB0_24:
	s_wait_alu 0xfffe
	s_and_not1_saveexec_b32 s1, s2
	s_cbranch_execz .LBB0_26
; %bb.25:
	s_wait_dscnt 0x0
	v_add_f64_e32 v[11:12], v[4:5], v[6:7]
	v_add_f64_e64 v[0:1], v[4:5], -v[6:7]
	ds_load_b64 v[4:5], v170 offset:8168
	v_mov_b32_e32 v8, 0
	v_mov_b32_e32 v9, 0
	s_delay_alu instid0(VALU_DEP_1)
	v_dual_mov_b32 v2, v8 :: v_dual_mov_b32 v3, v9
	s_wait_dscnt 0x0
	v_xor_b32_e32 v5, 0x80000000, v5
	ds_store_b64 v72, v[11:12]
	ds_store_b64 v170, v[4:5] offset:8168
.LBB0_26:
	s_wait_alu 0xfffe
	s_or_b32 exec_lo, exec_lo, s1
	v_mov_b32_e32 v74, 0
	v_lshl_add_u32 v23, v73, 4, v170
	v_lshl_add_u32 v24, v83, 4, v170
	s_wait_dscnt 0x0
	s_delay_alu instid0(VALU_DEP_3)
	v_lshlrev_b64_e32 v[4:5], 4, v[73:74]
	v_dual_mov_b32 v84, v74 :: v_dual_mov_b32 v71, v74
	v_mov_b32_e32 v172, v74
	v_mov_b32_e32 v80, v74
	;; [unrolled: 1-line block ×3, first 2 shown]
	v_add_co_u32 v4, s1, s4, v4
	s_wait_alu 0xf1ff
	v_add_co_ci_u32_e64 v5, s1, s5, v5, s1
	v_lshlrev_b64_e32 v[11:12], 4, v[83:84]
	global_load_b128 v[4:7], v[4:5], off offset:16288
	v_add_co_u32 v11, s1, s4, v11
	s_wait_alu 0xf1ff
	v_add_co_ci_u32_e64 v12, s1, s5, v12, s1
	global_load_b128 v[11:14], v[11:12], off offset:16288
	ds_store_b64 v72, v[8:9] offset:8
	ds_store_b128 v10, v[0:3] offset:16320
	ds_load_b128 v[0:3], v23
	ds_load_b128 v[15:18], v10 offset:15232
	s_wait_dscnt 0x0
	v_add_f64_e64 v[8:9], v[0:1], -v[15:16]
	v_add_f64_e32 v[19:20], v[2:3], v[17:18]
	v_add_f64_e64 v[2:3], v[2:3], -v[17:18]
	v_add_f64_e32 v[0:1], v[0:1], v[15:16]
	s_delay_alu instid0(VALU_DEP_4) | instskip(NEXT) | instid1(VALU_DEP_4)
	v_mul_f64_e32 v[8:9], 0.5, v[8:9]
	v_mul_f64_e32 v[17:18], 0.5, v[19:20]
	s_delay_alu instid0(VALU_DEP_4) | instskip(SKIP_1) | instid1(VALU_DEP_3)
	v_mul_f64_e32 v[2:3], 0.5, v[2:3]
	s_wait_loadcnt 0x1
	v_mul_f64_e32 v[15:16], v[8:9], v[6:7]
	s_delay_alu instid0(VALU_DEP_2) | instskip(SKIP_1) | instid1(VALU_DEP_3)
	v_fma_f64 v[19:20], v[17:18], v[6:7], v[2:3]
	v_fma_f64 v[6:7], v[17:18], v[6:7], -v[2:3]
	v_fma_f64 v[21:22], v[0:1], 0.5, v[15:16]
	v_fma_f64 v[15:16], v[0:1], 0.5, -v[15:16]
	s_delay_alu instid0(VALU_DEP_4) | instskip(NEXT) | instid1(VALU_DEP_4)
	v_fma_f64 v[2:3], -v[4:5], v[8:9], v[19:20]
	v_fma_f64 v[6:7], -v[4:5], v[8:9], v[6:7]
	v_lshlrev_b64_e32 v[8:9], 4, v[171:172]
	s_delay_alu instid0(VALU_DEP_1) | instskip(SKIP_1) | instid1(VALU_DEP_2)
	v_add_co_u32 v8, s1, s4, v8
	s_wait_alu 0xf1ff
	v_add_co_ci_u32_e64 v9, s1, s5, v9, s1
	v_fma_f64 v[0:1], v[17:18], v[4:5], v[21:22]
	v_fma_f64 v[4:5], -v[17:18], v[4:5], v[15:16]
	global_load_b128 v[15:18], v[8:9], off offset:16288
	ds_store_b128 v23, v[0:3]
	ds_store_b128 v10, v[4:7] offset:15232
	ds_load_b128 v[0:3], v24
	ds_load_b128 v[4:7], v10 offset:14144
	v_lshl_add_u32 v23, v171, 4, v170
	s_wait_dscnt 0x0
	v_add_f64_e64 v[8:9], v[0:1], -v[4:5]
	v_add_f64_e32 v[19:20], v[2:3], v[6:7]
	v_add_f64_e64 v[2:3], v[2:3], -v[6:7]
	v_add_f64_e32 v[0:1], v[0:1], v[4:5]
	s_delay_alu instid0(VALU_DEP_4) | instskip(NEXT) | instid1(VALU_DEP_4)
	v_mul_f64_e32 v[6:7], 0.5, v[8:9]
	v_mul_f64_e32 v[8:9], 0.5, v[19:20]
	s_delay_alu instid0(VALU_DEP_4) | instskip(SKIP_1) | instid1(VALU_DEP_3)
	v_mul_f64_e32 v[2:3], 0.5, v[2:3]
	s_wait_loadcnt 0x1
	v_mul_f64_e32 v[4:5], v[6:7], v[13:14]
	s_delay_alu instid0(VALU_DEP_2) | instskip(SKIP_1) | instid1(VALU_DEP_3)
	v_fma_f64 v[19:20], v[8:9], v[13:14], v[2:3]
	v_fma_f64 v[13:14], v[8:9], v[13:14], -v[2:3]
	v_fma_f64 v[21:22], v[0:1], 0.5, v[4:5]
	v_fma_f64 v[4:5], v[0:1], 0.5, -v[4:5]
	s_delay_alu instid0(VALU_DEP_4) | instskip(NEXT) | instid1(VALU_DEP_4)
	v_fma_f64 v[2:3], -v[11:12], v[6:7], v[19:20]
	v_fma_f64 v[6:7], -v[11:12], v[6:7], v[13:14]
	s_delay_alu instid0(VALU_DEP_4) | instskip(NEXT) | instid1(VALU_DEP_4)
	v_fma_f64 v[0:1], v[8:9], v[11:12], v[21:22]
	v_fma_f64 v[4:5], -v[8:9], v[11:12], v[4:5]
	v_lshlrev_b64_e32 v[8:9], 4, v[79:80]
	s_delay_alu instid0(VALU_DEP_1) | instskip(SKIP_1) | instid1(VALU_DEP_2)
	v_add_co_u32 v8, s1, s4, v8
	s_wait_alu 0xf1ff
	v_add_co_ci_u32_e64 v9, s1, s5, v9, s1
	global_load_b128 v[11:14], v[8:9], off offset:16288
	ds_store_b128 v24, v[0:3]
	ds_store_b128 v10, v[4:7] offset:14144
	ds_load_b128 v[0:3], v23
	ds_load_b128 v[4:7], v10 offset:13056
	v_lshl_add_u32 v24, v79, 4, v170
	s_wait_dscnt 0x0
	v_add_f64_e64 v[8:9], v[0:1], -v[4:5]
	v_add_f64_e32 v[19:20], v[2:3], v[6:7]
	v_add_f64_e64 v[2:3], v[2:3], -v[6:7]
	v_add_f64_e32 v[0:1], v[0:1], v[4:5]
	s_delay_alu instid0(VALU_DEP_4) | instskip(NEXT) | instid1(VALU_DEP_4)
	v_mul_f64_e32 v[6:7], 0.5, v[8:9]
	v_mul_f64_e32 v[8:9], 0.5, v[19:20]
	s_delay_alu instid0(VALU_DEP_4) | instskip(SKIP_1) | instid1(VALU_DEP_3)
	v_mul_f64_e32 v[2:3], 0.5, v[2:3]
	s_wait_loadcnt 0x1
	v_mul_f64_e32 v[4:5], v[6:7], v[17:18]
	s_delay_alu instid0(VALU_DEP_2) | instskip(SKIP_1) | instid1(VALU_DEP_3)
	v_fma_f64 v[19:20], v[8:9], v[17:18], v[2:3]
	v_fma_f64 v[17:18], v[8:9], v[17:18], -v[2:3]
	v_fma_f64 v[21:22], v[0:1], 0.5, v[4:5]
	v_fma_f64 v[4:5], v[0:1], 0.5, -v[4:5]
	s_delay_alu instid0(VALU_DEP_4) | instskip(NEXT) | instid1(VALU_DEP_4)
	v_fma_f64 v[2:3], -v[15:16], v[6:7], v[19:20]
	v_fma_f64 v[6:7], -v[15:16], v[6:7], v[17:18]
	s_delay_alu instid0(VALU_DEP_4) | instskip(NEXT) | instid1(VALU_DEP_4)
	v_fma_f64 v[0:1], v[8:9], v[15:16], v[21:22]
	v_fma_f64 v[4:5], -v[8:9], v[15:16], v[4:5]
	v_lshlrev_b64_e32 v[8:9], 4, v[77:78]
	s_delay_alu instid0(VALU_DEP_1) | instskip(SKIP_1) | instid1(VALU_DEP_2)
	v_add_co_u32 v8, s1, s4, v8
	s_wait_alu 0xf1ff
	v_add_co_ci_u32_e64 v9, s1, s5, v9, s1
	;; [unrolled: 34-line block ×3, first 2 shown]
	global_load_b128 v[11:14], v[8:9], off offset:16288
	ds_store_b128 v24, v[0:3]
	ds_store_b128 v10, v[4:7] offset:11968
	ds_load_b128 v[0:3], v23
	ds_load_b128 v[4:7], v10 offset:10880
	s_wait_dscnt 0x0
	v_add_f64_e64 v[8:9], v[0:1], -v[4:5]
	v_add_f64_e32 v[19:20], v[2:3], v[6:7]
	v_add_f64_e64 v[2:3], v[2:3], -v[6:7]
	v_add_f64_e32 v[0:1], v[0:1], v[4:5]
	s_delay_alu instid0(VALU_DEP_4) | instskip(NEXT) | instid1(VALU_DEP_4)
	v_mul_f64_e32 v[6:7], 0.5, v[8:9]
	v_mul_f64_e32 v[8:9], 0.5, v[19:20]
	s_delay_alu instid0(VALU_DEP_4) | instskip(SKIP_1) | instid1(VALU_DEP_3)
	v_mul_f64_e32 v[2:3], 0.5, v[2:3]
	s_wait_loadcnt 0x1
	v_mul_f64_e32 v[4:5], v[6:7], v[17:18]
	s_delay_alu instid0(VALU_DEP_2) | instskip(SKIP_1) | instid1(VALU_DEP_3)
	v_fma_f64 v[19:20], v[8:9], v[17:18], v[2:3]
	v_fma_f64 v[17:18], v[8:9], v[17:18], -v[2:3]
	v_fma_f64 v[21:22], v[0:1], 0.5, v[4:5]
	v_fma_f64 v[4:5], v[0:1], 0.5, -v[4:5]
	s_delay_alu instid0(VALU_DEP_4) | instskip(NEXT) | instid1(VALU_DEP_4)
	v_fma_f64 v[2:3], -v[15:16], v[6:7], v[19:20]
	v_fma_f64 v[6:7], -v[15:16], v[6:7], v[17:18]
	v_lshl_add_u32 v19, v70, 4, v170
	v_fma_f64 v[0:1], v[8:9], v[15:16], v[21:22]
	v_fma_f64 v[4:5], -v[8:9], v[15:16], v[4:5]
	ds_store_b128 v23, v[0:3]
	ds_store_b128 v10, v[4:7] offset:10880
	ds_load_b128 v[0:3], v19
	ds_load_b128 v[4:7], v10 offset:9792
	s_wait_dscnt 0x0
	v_add_f64_e64 v[8:9], v[0:1], -v[4:5]
	v_add_f64_e32 v[15:16], v[2:3], v[6:7]
	v_add_f64_e64 v[2:3], v[2:3], -v[6:7]
	v_add_f64_e32 v[0:1], v[0:1], v[4:5]
	s_delay_alu instid0(VALU_DEP_4) | instskip(NEXT) | instid1(VALU_DEP_4)
	v_mul_f64_e32 v[6:7], 0.5, v[8:9]
	v_mul_f64_e32 v[8:9], 0.5, v[15:16]
	s_delay_alu instid0(VALU_DEP_4) | instskip(SKIP_1) | instid1(VALU_DEP_3)
	v_mul_f64_e32 v[2:3], 0.5, v[2:3]
	s_wait_loadcnt 0x0
	v_mul_f64_e32 v[4:5], v[6:7], v[13:14]
	s_delay_alu instid0(VALU_DEP_2) | instskip(SKIP_1) | instid1(VALU_DEP_3)
	v_fma_f64 v[15:16], v[8:9], v[13:14], v[2:3]
	v_fma_f64 v[13:14], v[8:9], v[13:14], -v[2:3]
	v_fma_f64 v[17:18], v[0:1], 0.5, v[4:5]
	v_fma_f64 v[4:5], v[0:1], 0.5, -v[4:5]
	s_delay_alu instid0(VALU_DEP_4) | instskip(NEXT) | instid1(VALU_DEP_4)
	v_fma_f64 v[2:3], -v[11:12], v[6:7], v[15:16]
	v_fma_f64 v[6:7], -v[11:12], v[6:7], v[13:14]
	s_delay_alu instid0(VALU_DEP_4) | instskip(NEXT) | instid1(VALU_DEP_4)
	v_fma_f64 v[0:1], v[8:9], v[11:12], v[17:18]
	v_fma_f64 v[4:5], -v[8:9], v[11:12], v[4:5]
	ds_store_b128 v19, v[0:3]
	ds_store_b128 v10, v[4:7] offset:9792
	s_and_saveexec_b32 s1, s0
	s_cbranch_execz .LBB0_28
; %bb.27:
	v_mov_b32_e32 v76, v74
	v_lshl_add_u32 v17, v75, 4, v170
	s_delay_alu instid0(VALU_DEP_2) | instskip(NEXT) | instid1(VALU_DEP_1)
	v_lshlrev_b64_e32 v[0:1], 4, v[75:76]
	v_add_co_u32 v0, s0, s4, v0
	s_wait_alu 0xf1ff
	s_delay_alu instid0(VALU_DEP_2)
	v_add_co_ci_u32_e64 v1, s0, s5, v1, s0
	global_load_b128 v[0:3], v[0:1], off offset:16288
	ds_load_b128 v[4:7], v17
	ds_load_b128 v[11:14], v10 offset:8704
	s_wait_dscnt 0x0
	v_add_f64_e64 v[8:9], v[4:5], -v[11:12]
	v_add_f64_e32 v[15:16], v[6:7], v[13:14]
	v_add_f64_e64 v[6:7], v[6:7], -v[13:14]
	v_add_f64_e32 v[4:5], v[4:5], v[11:12]
	s_delay_alu instid0(VALU_DEP_4) | instskip(NEXT) | instid1(VALU_DEP_4)
	v_mul_f64_e32 v[8:9], 0.5, v[8:9]
	v_mul_f64_e32 v[13:14], 0.5, v[15:16]
	s_delay_alu instid0(VALU_DEP_4) | instskip(SKIP_1) | instid1(VALU_DEP_3)
	v_mul_f64_e32 v[6:7], 0.5, v[6:7]
	s_wait_loadcnt 0x0
	v_mul_f64_e32 v[11:12], v[8:9], v[2:3]
	s_delay_alu instid0(VALU_DEP_2) | instskip(SKIP_1) | instid1(VALU_DEP_3)
	v_fma_f64 v[15:16], v[13:14], v[2:3], v[6:7]
	v_fma_f64 v[2:3], v[13:14], v[2:3], -v[6:7]
	v_fma_f64 v[6:7], v[4:5], 0.5, v[11:12]
	v_fma_f64 v[11:12], v[4:5], 0.5, -v[11:12]
	s_delay_alu instid0(VALU_DEP_4) | instskip(NEXT) | instid1(VALU_DEP_4)
	v_fma_f64 v[4:5], -v[0:1], v[8:9], v[15:16]
	v_fma_f64 v[8:9], -v[0:1], v[8:9], v[2:3]
	s_delay_alu instid0(VALU_DEP_4) | instskip(NEXT) | instid1(VALU_DEP_4)
	v_fma_f64 v[2:3], v[13:14], v[0:1], v[6:7]
	v_fma_f64 v[6:7], -v[13:14], v[0:1], v[11:12]
	ds_store_b128 v17, v[2:5]
	ds_store_b128 v10, v[6:9] offset:8704
.LBB0_28:
	s_wait_alu 0xfffe
	s_or_b32 exec_lo, exec_lo, s1
	global_wb scope:SCOPE_SE
	s_wait_dscnt 0x0
	s_barrier_signal -1
	s_barrier_wait -1
	global_inv scope:SCOPE_SE
	s_and_saveexec_b32 s0, vcc_lo
	s_cbranch_execz .LBB0_31
; %bb.29:
	v_mov_b32_e32 v69, 0
	v_add_co_u32 v0, vcc_lo, s8, v168
	s_wait_alu 0xfffd
	v_add_co_ci_u32_e32 v1, vcc_lo, s9, v169, vcc_lo
	s_delay_alu instid0(VALU_DEP_3)
	v_lshlrev_b64_e32 v[42:43], 4, v[68:69]
	ds_load_b128 v[2:5], v72
	ds_load_b128 v[6:9], v72 offset:1088
	ds_load_b128 v[10:13], v72 offset:2176
	;; [unrolled: 1-line block ×9, first 2 shown]
	v_add_co_u32 v62, vcc_lo, v0, v42
	s_wait_alu 0xfffd
	v_add_co_ci_u32_e32 v63, vcc_lo, v1, v43, vcc_lo
	ds_load_b128 v[42:45], v72 offset:10880
	ds_load_b128 v[46:49], v72 offset:11968
	ds_load_b128 v[50:53], v72 offset:13056
	ds_load_b128 v[54:57], v72 offset:14144
	ds_load_b128 v[58:61], v72 offset:15232
	v_cmp_eq_u32_e32 vcc_lo, 0x43, v68
	s_wait_dscnt 0xe
	global_store_b128 v[62:63], v[2:5], off
	s_wait_dscnt 0xd
	global_store_b128 v[62:63], v[6:9], off offset:1088
	s_wait_dscnt 0xc
	global_store_b128 v[62:63], v[10:13], off offset:2176
	;; [unrolled: 2-line block ×14, first 2 shown]
	s_and_b32 exec_lo, exec_lo, vcc_lo
	s_cbranch_execz .LBB0_31
; %bb.30:
	ds_load_b128 v[2:5], v72 offset:15248
	s_wait_dscnt 0x0
	global_store_b128 v[0:1], v[2:5], off offset:16320
.LBB0_31:
	s_nop 0
	s_sendmsg sendmsg(MSG_DEALLOC_VGPRS)
	s_endpgm
	.section	.rodata,"a",@progbits
	.p2align	6, 0x0
	.amdhsa_kernel fft_rtc_fwd_len1020_factors_2_17_2_3_5_wgs_204_tpt_68_halfLds_dp_ip_CI_unitstride_sbrr_R2C_dirReg
		.amdhsa_group_segment_fixed_size 0
		.amdhsa_private_segment_fixed_size 196
		.amdhsa_kernarg_size 88
		.amdhsa_user_sgpr_count 2
		.amdhsa_user_sgpr_dispatch_ptr 0
		.amdhsa_user_sgpr_queue_ptr 0
		.amdhsa_user_sgpr_kernarg_segment_ptr 1
		.amdhsa_user_sgpr_dispatch_id 0
		.amdhsa_user_sgpr_private_segment_size 0
		.amdhsa_wavefront_size32 1
		.amdhsa_uses_dynamic_stack 0
		.amdhsa_enable_private_segment 1
		.amdhsa_system_sgpr_workgroup_id_x 1
		.amdhsa_system_sgpr_workgroup_id_y 0
		.amdhsa_system_sgpr_workgroup_id_z 0
		.amdhsa_system_sgpr_workgroup_info 0
		.amdhsa_system_vgpr_workitem_id 0
		.amdhsa_next_free_vgpr 256
		.amdhsa_next_free_sgpr 56
		.amdhsa_reserve_vcc 1
		.amdhsa_float_round_mode_32 0
		.amdhsa_float_round_mode_16_64 0
		.amdhsa_float_denorm_mode_32 3
		.amdhsa_float_denorm_mode_16_64 3
		.amdhsa_fp16_overflow 0
		.amdhsa_workgroup_processor_mode 1
		.amdhsa_memory_ordered 1
		.amdhsa_forward_progress 0
		.amdhsa_round_robin_scheduling 0
		.amdhsa_exception_fp_ieee_invalid_op 0
		.amdhsa_exception_fp_denorm_src 0
		.amdhsa_exception_fp_ieee_div_zero 0
		.amdhsa_exception_fp_ieee_overflow 0
		.amdhsa_exception_fp_ieee_underflow 0
		.amdhsa_exception_fp_ieee_inexact 0
		.amdhsa_exception_int_div_zero 0
	.end_amdhsa_kernel
	.text
.Lfunc_end0:
	.size	fft_rtc_fwd_len1020_factors_2_17_2_3_5_wgs_204_tpt_68_halfLds_dp_ip_CI_unitstride_sbrr_R2C_dirReg, .Lfunc_end0-fft_rtc_fwd_len1020_factors_2_17_2_3_5_wgs_204_tpt_68_halfLds_dp_ip_CI_unitstride_sbrr_R2C_dirReg
                                        ; -- End function
	.section	.AMDGPU.csdata,"",@progbits
; Kernel info:
; codeLenInByte = 16808
; NumSgprs: 58
; NumVgprs: 256
; ScratchSize: 196
; MemoryBound: 0
; FloatMode: 240
; IeeeMode: 1
; LDSByteSize: 0 bytes/workgroup (compile time only)
; SGPRBlocks: 7
; VGPRBlocks: 31
; NumSGPRsForWavesPerEU: 58
; NumVGPRsForWavesPerEU: 256
; Occupancy: 5
; WaveLimiterHint : 1
; COMPUTE_PGM_RSRC2:SCRATCH_EN: 1
; COMPUTE_PGM_RSRC2:USER_SGPR: 2
; COMPUTE_PGM_RSRC2:TRAP_HANDLER: 0
; COMPUTE_PGM_RSRC2:TGID_X_EN: 1
; COMPUTE_PGM_RSRC2:TGID_Y_EN: 0
; COMPUTE_PGM_RSRC2:TGID_Z_EN: 0
; COMPUTE_PGM_RSRC2:TIDIG_COMP_CNT: 0
	.text
	.p2alignl 7, 3214868480
	.fill 96, 4, 3214868480
	.type	__hip_cuid_ca346afb0e06c70f,@object ; @__hip_cuid_ca346afb0e06c70f
	.section	.bss,"aw",@nobits
	.globl	__hip_cuid_ca346afb0e06c70f
__hip_cuid_ca346afb0e06c70f:
	.byte	0                               ; 0x0
	.size	__hip_cuid_ca346afb0e06c70f, 1

	.ident	"AMD clang version 19.0.0git (https://github.com/RadeonOpenCompute/llvm-project roc-6.4.0 25133 c7fe45cf4b819c5991fe208aaa96edf142730f1d)"
	.section	".note.GNU-stack","",@progbits
	.addrsig
	.addrsig_sym __hip_cuid_ca346afb0e06c70f
	.amdgpu_metadata
---
amdhsa.kernels:
  - .args:
      - .actual_access:  read_only
        .address_space:  global
        .offset:         0
        .size:           8
        .value_kind:     global_buffer
      - .offset:         8
        .size:           8
        .value_kind:     by_value
      - .actual_access:  read_only
        .address_space:  global
        .offset:         16
        .size:           8
        .value_kind:     global_buffer
      - .actual_access:  read_only
        .address_space:  global
        .offset:         24
        .size:           8
        .value_kind:     global_buffer
      - .offset:         32
        .size:           8
        .value_kind:     by_value
      - .actual_access:  read_only
        .address_space:  global
        .offset:         40
        .size:           8
        .value_kind:     global_buffer
      - .actual_access:  read_only
        .address_space:  global
        .offset:         48
        .size:           8
        .value_kind:     global_buffer
      - .offset:         56
        .size:           4
        .value_kind:     by_value
      - .actual_access:  read_only
        .address_space:  global
        .offset:         64
        .size:           8
        .value_kind:     global_buffer
      - .actual_access:  read_only
        .address_space:  global
        .offset:         72
        .size:           8
        .value_kind:     global_buffer
      - .address_space:  global
        .offset:         80
        .size:           8
        .value_kind:     global_buffer
    .group_segment_fixed_size: 0
    .kernarg_segment_align: 8
    .kernarg_segment_size: 88
    .language:       OpenCL C
    .language_version:
      - 2
      - 0
    .max_flat_workgroup_size: 204
    .name:           fft_rtc_fwd_len1020_factors_2_17_2_3_5_wgs_204_tpt_68_halfLds_dp_ip_CI_unitstride_sbrr_R2C_dirReg
    .private_segment_fixed_size: 196
    .sgpr_count:     58
    .sgpr_spill_count: 0
    .symbol:         fft_rtc_fwd_len1020_factors_2_17_2_3_5_wgs_204_tpt_68_halfLds_dp_ip_CI_unitstride_sbrr_R2C_dirReg.kd
    .uniform_work_group_size: 1
    .uses_dynamic_stack: false
    .vgpr_count:     256
    .vgpr_spill_count: 48
    .wavefront_size: 32
    .workgroup_processor_mode: 1
amdhsa.target:   amdgcn-amd-amdhsa--gfx1201
amdhsa.version:
  - 1
  - 2
...

	.end_amdgpu_metadata
